;; amdgpu-corpus repo=ROCm/rocFFT kind=compiled arch=gfx1100 opt=O3
	.text
	.amdgcn_target "amdgcn-amd-amdhsa--gfx1100"
	.amdhsa_code_object_version 6
	.protected	bluestein_single_back_len600_dim1_sp_op_CI_CI ; -- Begin function bluestein_single_back_len600_dim1_sp_op_CI_CI
	.globl	bluestein_single_back_len600_dim1_sp_op_CI_CI
	.p2align	8
	.type	bluestein_single_back_len600_dim1_sp_op_CI_CI,@function
bluestein_single_back_len600_dim1_sp_op_CI_CI: ; @bluestein_single_back_len600_dim1_sp_op_CI_CI
; %bb.0:
	s_load_b128 s[16:19], s[0:1], 0x28
	v_mul_u32_u24_e32 v1, 0x445, v0
	s_mov_b32 s2, exec_lo
	v_mov_b32_e32 v57, 0
	s_delay_alu instid0(VALU_DEP_2) | instskip(NEXT) | instid1(VALU_DEP_1)
	v_lshrrev_b32_e32 v1, 16, v1
	v_add_nc_u32_e32 v56, s15, v1
	s_waitcnt lgkmcnt(0)
	s_delay_alu instid0(VALU_DEP_1)
	v_cmpx_gt_u64_e64 s[16:17], v[56:57]
	s_cbranch_execz .LBB0_10
; %bb.1:
	s_clause 0x1
	s_load_b128 s[4:7], s[0:1], 0x18
	s_load_b128 s[8:11], s[0:1], 0x0
	v_mul_lo_u16 v1, v1, 60
	s_delay_alu instid0(VALU_DEP_1) | instskip(NEXT) | instid1(VALU_DEP_1)
	v_sub_nc_u16 v0, v0, v1
	v_and_b32_e32 v83, 0xffff, v0
	s_waitcnt lgkmcnt(0)
	s_load_b128 s[12:15], s[4:5], 0x0
	s_waitcnt lgkmcnt(0)
	v_mad_u64_u32 v[1:2], null, s14, v56, 0
	v_mad_u64_u32 v[3:4], null, s12, v83, 0
	s_mul_hi_u32 s3, s12, 0x1e0
	s_mul_i32 s4, s12, 0x1e0
	s_delay_alu instid0(VALU_DEP_1) | instskip(NEXT) | instid1(VALU_DEP_1)
	v_mad_u64_u32 v[5:6], null, s15, v56, v[2:3]
	v_mov_b32_e32 v2, v5
	s_delay_alu instid0(VALU_DEP_3)
	v_mad_u64_u32 v[6:7], null, s13, v83, v[4:5]
	v_lshlrev_b32_e32 v84, 3, v83
	s_clause 0x3
	global_load_b64 v[75:76], v84, s[8:9]
	global_load_b64 v[69:70], v84, s[8:9] offset:480
	global_load_b64 v[61:62], v84, s[8:9] offset:960
	;; [unrolled: 1-line block ×3, first 2 shown]
	v_mov_b32_e32 v4, v6
	v_lshlrev_b64 v[1:2], 3, v[1:2]
	s_clause 0x3
	global_load_b64 v[67:68], v84, s[8:9] offset:1920
	global_load_b64 v[59:60], v84, s[8:9] offset:2400
	global_load_b64 v[63:64], v84, s[8:9] offset:2880
	global_load_b64 v[57:58], v84, s[8:9] offset:3360
	v_lshlrev_b64 v[3:4], 3, v[3:4]
	v_add_co_u32 v1, vcc_lo, s18, v1
	v_add_co_ci_u32_e32 v2, vcc_lo, s19, v2, vcc_lo
	s_delay_alu instid0(VALU_DEP_2) | instskip(NEXT) | instid1(VALU_DEP_2)
	v_add_co_u32 v1, vcc_lo, v1, v3
	v_add_co_ci_u32_e32 v2, vcc_lo, v2, v4, vcc_lo
	s_delay_alu instid0(VALU_DEP_2) | instskip(SKIP_4) | instid1(VALU_DEP_1)
	v_add_co_u32 v3, vcc_lo, v1, s4
	global_load_b64 v[9:10], v[1:2], off
	s_waitcnt vmcnt(0)
	v_mul_f32_e32 v23, v10, v76
	v_add_co_u32 v42, s2, s8, v84
	v_add_co_ci_u32_e64 v43, null, s9, 0, s2
	s_mul_i32 s2, s13, 0x1e0
	s_delay_alu instid0(VALU_DEP_3) | instskip(SKIP_1) | instid1(SALU_CYCLE_1)
	v_fmac_f32_e32 v23, v9, v75
	s_add_i32 s3, s3, s2
	v_add_co_ci_u32_e32 v4, vcc_lo, s3, v2, vcc_lo
	v_add_co_u32 v5, vcc_lo, v3, s4
	s_delay_alu instid0(VALU_DEP_2) | instskip(SKIP_2) | instid1(VALU_DEP_4)
	v_add_co_ci_u32_e32 v6, vcc_lo, s3, v4, vcc_lo
	v_add_co_u32 v40, vcc_lo, 0x1000, v42
	v_add_co_ci_u32_e32 v41, vcc_lo, 0, v43, vcc_lo
	v_add_co_u32 v7, vcc_lo, v5, s4
	s_delay_alu instid0(VALU_DEP_4) | instskip(NEXT) | instid1(VALU_DEP_2)
	v_add_co_ci_u32_e32 v8, vcc_lo, s3, v6, vcc_lo
	v_add_co_u32 v1, vcc_lo, v7, s4
	s_delay_alu instid0(VALU_DEP_2)
	v_add_co_ci_u32_e32 v2, vcc_lo, s3, v8, vcc_lo
	s_clause 0x2
	global_load_b64 v[3:4], v[3:4], off
	global_load_b64 v[5:6], v[5:6], off
	;; [unrolled: 1-line block ×3, first 2 shown]
	v_add_co_u32 v11, vcc_lo, v1, s4
	v_add_co_ci_u32_e32 v12, vcc_lo, s3, v2, vcc_lo
	global_load_b64 v[13:14], v[1:2], off
	v_add_co_u32 v1, vcc_lo, v11, s4
	v_add_co_ci_u32_e32 v2, vcc_lo, s3, v12, vcc_lo
	global_load_b64 v[11:12], v[11:12], off
	v_add_co_u32 v15, vcc_lo, v1, s4
	v_add_co_ci_u32_e32 v16, vcc_lo, s3, v2, vcc_lo
	global_load_b64 v[17:18], v[1:2], off
	v_add_co_u32 v1, vcc_lo, v15, s4
	v_add_co_ci_u32_e32 v2, vcc_lo, s3, v16, vcc_lo
	global_load_b64 v[15:16], v[15:16], off
	v_add_co_u32 v19, vcc_lo, v1, s4
	v_add_co_ci_u32_e32 v20, vcc_lo, s3, v2, vcc_lo
	global_load_b64 v[71:72], v84, s[8:9] offset:3840
	global_load_b64 v[21:22], v[1:2], off
	global_load_b64 v[73:74], v[40:41], off offset:224
	global_load_b64 v[19:20], v[19:20], off
	v_add_nc_u32_e32 v1, 0x800, v84
	v_add_nc_u32_e32 v28, 0x400, v84
	;; [unrolled: 1-line block ×3, first 2 shown]
	v_mul_f32_e32 v24, v9, v76
	s_load_b128 s[4:7], s[6:7], 0x0
	s_load_b64 s[2:3], s[0:1], 0x38
	v_cmp_gt_u16_e32 vcc_lo, 40, v0
	s_waitcnt vmcnt(10)
	v_mul_f32_e32 v25, v4, v70
	s_waitcnt vmcnt(9)
	v_mul_f32_e32 v9, v6, v62
	v_mul_f32_e32 v26, v3, v70
	v_fma_f32 v24, v10, v75, -v24
	s_waitcnt vmcnt(8)
	v_mul_f32_e32 v27, v7, v66
	v_fmac_f32_e32 v25, v3, v69
	v_fmac_f32_e32 v9, v5, v61
	v_fma_f32 v26, v4, v69, -v26
	v_mul_f32_e32 v4, v5, v62
	v_mul_f32_e32 v3, v8, v66
	s_waitcnt vmcnt(7)
	v_mul_f32_e32 v5, v14, v68
	s_delay_alu instid0(VALU_DEP_3) | instskip(NEXT) | instid1(VALU_DEP_3)
	v_fma_f32 v10, v6, v61, -v4
	v_dual_mul_f32 v6, v13, v68 :: v_dual_fmac_f32 v3, v7, v65
	s_waitcnt vmcnt(6)
	v_mul_f32_e32 v7, v12, v60
	s_delay_alu instid0(VALU_DEP_2)
	v_fma_f32 v6, v14, v67, -v6
	s_waitcnt vmcnt(5)
	v_mul_f32_e32 v14, v17, v64
	v_fma_f32 v4, v8, v65, -v27
	v_mul_f32_e32 v8, v11, v60
	v_fmac_f32_e32 v7, v11, v59
	s_waitcnt vmcnt(4)
	v_mul_f32_e32 v11, v16, v58
	v_fma_f32 v14, v18, v63, -v14
	v_fma_f32 v8, v12, v59, -v8
	v_dual_mul_f32 v12, v15, v58 :: v_dual_fmac_f32 v5, v13, v67
	v_mul_f32_e32 v13, v18, v64
	v_fmac_f32_e32 v11, v15, v57
	s_waitcnt vmcnt(2)
	v_mul_f32_e32 v15, v22, v72
	s_waitcnt vmcnt(0)
	v_dual_mul_f32 v18, v21, v72 :: v_dual_mul_f32 v27, v19, v74
	v_fmac_f32_e32 v13, v17, v63
	v_mul_f32_e32 v17, v20, v74
	v_fma_f32 v12, v16, v57, -v12
	v_fmac_f32_e32 v15, v21, v71
	v_fma_f32 v16, v22, v71, -v18
	v_fma_f32 v18, v20, v73, -v27
	v_fmac_f32_e32 v17, v19, v73
	ds_store_2addr_b64 v84, v[23:24], v[25:26] offset1:60
	ds_store_2addr_b64 v84, v[9:10], v[3:4] offset0:120 offset1:180
	ds_store_2addr_b64 v28, v[5:6], v[7:8] offset0:112 offset1:172
	;; [unrolled: 1-line block ×4, first 2 shown]
	s_waitcnt lgkmcnt(0)
	s_barrier
	buffer_gl0_inv
	ds_load_2addr_b64 v[3:6], v84 offset1:60
	ds_load_2addr_b64 v[7:10], v84 offset0:120 offset1:180
	ds_load_2addr_b64 v[11:14], v28 offset0:112 offset1:172
	;; [unrolled: 1-line block ×4, first 2 shown]
	v_mul_lo_u16 v23, v0, 10
	s_waitcnt lgkmcnt(0)
	s_barrier
	buffer_gl0_inv
	v_dual_add_f32 v54, v6, v10 :: v_dual_and_b32 v23, 0xffff, v23
	v_dual_sub_f32 v27, v7, v11 :: v_dual_sub_f32 v78, v10, v14
	v_dual_add_f32 v24, v11, v15 :: v_dual_sub_f32 v25, v8, v20
	v_dual_sub_f32 v52, v13, v9 :: v_dual_sub_f32 v29, v19, v15
	v_add_f32_e32 v80, v10, v22
	v_add_f32_e32 v30, v7, v19
	v_sub_f32_e32 v31, v11, v7
	v_dual_sub_f32 v32, v15, v19 :: v_dual_add_f32 v33, v4, v8
	v_add_f32_e32 v34, v12, v16
	v_sub_f32_e32 v36, v8, v12
	v_add_f32_e32 v38, v8, v20
	v_sub_f32_e32 v8, v12, v8
	v_add_f32_e32 v46, v13, v17
	v_lshlrev_b32_e32 v44, 3, v23
	v_dual_add_f32 v23, v3, v7 :: v_dual_sub_f32 v50, v21, v17
	v_sub_f32_e32 v47, v10, v22
	v_dual_sub_f32 v48, v14, v18 :: v_dual_sub_f32 v49, v9, v13
	v_add_f32_e32 v55, v14, v18
	v_sub_f32_e32 v10, v14, v10
	v_dual_add_f32 v14, v54, v14 :: v_dual_sub_f32 v39, v16, v20
	v_dual_add_f32 v45, v5, v9 :: v_dual_sub_f32 v26, v12, v16
	v_sub_f32_e32 v37, v20, v16
	v_sub_f32_e32 v35, v11, v15
	s_delay_alu instid0(VALU_DEP_4)
	v_dual_sub_f32 v77, v13, v17 :: v_dual_add_f32 v14, v14, v18
	v_add_f32_e32 v11, v23, v11
	v_fma_f32 v23, -0.5, v24, v3
	v_add_f32_e32 v24, v27, v29
	v_dual_sub_f32 v7, v7, v19 :: v_dual_add_f32 v12, v33, v12
	v_fma_f32 v27, -0.5, v30, v3
	v_add_f32_e32 v3, v31, v32
	v_fma_f32 v29, -0.5, v34, v4
	v_fma_f32 v31, -0.5, v38, v4
	v_add_f32_e32 v32, v49, v50
	v_add_f32_e32 v4, v8, v39
	;; [unrolled: 1-line block ×3, first 2 shown]
	v_fma_f32 v13, -0.5, v46, v5
	v_dual_sub_f32 v53, v17, v21 :: v_dual_add_f32 v12, v12, v16
	s_delay_alu instid0(VALU_DEP_3)
	v_dual_sub_f32 v79, v22, v18 :: v_dual_add_f32 v8, v8, v17
	v_dual_add_f32 v51, v9, v21 :: v_dual_fmamk_f32 v38, v7, 0xbf737871, v29
	v_fma_f32 v34, -0.5, v55, v6
	v_dual_fmac_f32 v6, -0.5, v80 :: v_dual_sub_f32 v9, v9, v21
	v_dual_fmamk_f32 v16, v47, 0x3f737871, v13 :: v_dual_sub_f32 v81, v18, v22
	v_add_f32_e32 v30, v36, v37
	v_dual_add_f32 v33, v52, v53 :: v_dual_fmac_f32 v38, 0xbf167918, v35
	s_delay_alu instid0(VALU_DEP_4) | instskip(NEXT) | instid1(VALU_DEP_4)
	v_fmamk_f32 v18, v9, 0xbf737871, v34
	v_dual_add_f32 v10, v10, v81 :: v_dual_add_f32 v11, v11, v15
	v_dual_fmamk_f32 v15, v25, 0x3f737871, v23 :: v_dual_add_f32 v12, v12, v20
	v_add_f32_e32 v36, v78, v79
	v_fma_f32 v5, -0.5, v51, v5
	v_fmac_f32_e32 v34, 0x3f737871, v9
	s_delay_alu instid0(VALU_DEP_4)
	v_fmac_f32_e32 v15, 0x3f167918, v26
	v_fmac_f32_e32 v38, 0x3e9e377a, v30
	v_fmamk_f32 v39, v35, 0x3f737871, v31
	v_fmamk_f32 v17, v48, 0xbf737871, v5
	v_fmac_f32_e32 v34, 0x3f167918, v77
	v_fmac_f32_e32 v15, 0x3e9e377a, v24
	v_fmamk_f32 v45, v77, 0x3f737871, v6
	v_fmac_f32_e32 v23, 0xbf737871, v25
	v_fmac_f32_e32 v17, 0x3f167918, v47
	v_dual_fmac_f32 v6, 0xbf737871, v77 :: v_dual_add_f32 v11, v11, v19
	v_fmac_f32_e32 v16, 0x3f167918, v48
	v_fmac_f32_e32 v45, 0xbf167918, v9
	s_delay_alu instid0(VALU_DEP_4)
	v_fmac_f32_e32 v17, 0x3e9e377a, v33
	v_fmac_f32_e32 v31, 0xbf737871, v35
	;; [unrolled: 1-line block ×7, first 2 shown]
	v_dual_add_f32 v7, v8, v21 :: v_dual_fmac_f32 v16, 0x3e9e377a, v32
	v_add_f32_e32 v8, v14, v22
	v_mul_f32_e32 v14, 0x3f737871, v45
	v_fmac_f32_e32 v29, 0x3f167918, v35
	v_fmamk_f32 v37, v26, 0xbf737871, v27
	v_fmac_f32_e32 v27, 0x3f737871, v26
	v_dual_fmac_f32 v23, 0xbf167918, v26 :: v_dual_fmac_f32 v18, 0xbf167918, v77
	s_delay_alu instid0(VALU_DEP_4) | instskip(SKIP_1) | instid1(VALU_DEP_3)
	v_dual_fmac_f32 v29, 0x3e9e377a, v30 :: v_dual_fmac_f32 v14, 0x3e9e377a, v17
	v_fmac_f32_e32 v5, 0x3f737871, v48
	v_dual_fmac_f32 v23, 0x3e9e377a, v24 :: v_dual_fmac_f32 v6, 0x3e9e377a, v10
	v_dual_sub_f32 v10, v12, v8 :: v_dual_fmac_f32 v27, 0xbf167918, v25
	s_delay_alu instid0(VALU_DEP_3)
	v_fmac_f32_e32 v5, 0xbf167918, v47
	v_fmac_f32_e32 v39, 0x3e9e377a, v4
	;; [unrolled: 1-line block ×3, first 2 shown]
	v_mul_f32_e32 v24, 0xbf737871, v17
	v_fmac_f32_e32 v27, 0x3e9e377a, v3
	v_fmac_f32_e32 v31, 0x3e9e377a, v4
	v_dual_fmac_f32 v5, 0x3e9e377a, v33 :: v_dual_add_f32 v4, v12, v8
	s_delay_alu instid0(VALU_DEP_4) | instskip(SKIP_3) | instid1(VALU_DEP_3)
	v_fmac_f32_e32 v24, 0x3e9e377a, v45
	v_fmac_f32_e32 v37, 0x3f167918, v25
	v_dual_sub_f32 v9, v11, v7 :: v_dual_fmac_f32 v18, 0x3e9e377a, v36
	v_mul_f32_e32 v21, 0xbf167918, v16
	v_dual_mul_f32 v12, 0x3e9e377a, v6 :: v_dual_fmac_f32 v37, 0x3e9e377a, v3
	v_add_f32_e32 v3, v11, v7
	v_mul_f32_e32 v7, 0x3e9e377a, v5
	v_mul_f32_e32 v11, 0x3f4f1bbd, v16
	v_fmac_f32_e32 v21, 0x3f4f1bbd, v18
	v_mul_f32_e32 v16, 0x3f4f1bbd, v34
	v_fma_f32 v25, 0xbf737871, v5, -v12
	v_fma_f32 v20, 0x3f737871, v6, -v7
	v_fmac_f32_e32 v13, 0xbf737871, v47
	v_dual_fmac_f32 v11, 0x3f167918, v18 :: v_dual_add_f32 v6, v38, v21
	v_add_f32_e32 v17, v39, v24
	s_delay_alu instid0(VALU_DEP_4) | instskip(NEXT) | instid1(VALU_DEP_4)
	v_add_f32_e32 v18, v27, v20
	v_fmac_f32_e32 v13, 0xbf167918, v48
	s_delay_alu instid0(VALU_DEP_4)
	v_add_f32_e32 v5, v15, v11
	v_add_f32_e32 v19, v31, v25
	v_sub_f32_e32 v12, v15, v11
	v_sub_f32_e32 v15, v39, v24
	v_fmac_f32_e32 v13, 0x3e9e377a, v32
	v_sub_f32_e32 v20, v27, v20
                                        ; implicit-def: $vgpr36
	s_delay_alu instid0(VALU_DEP_2) | instskip(SKIP_3) | instid1(VALU_DEP_4)
	v_mul_f32_e32 v8, 0x3f4f1bbd, v13
	v_fma_f32 v26, 0xbf167918, v13, -v16
	v_add_f32_e32 v16, v37, v14
	v_dual_sub_f32 v14, v37, v14 :: v_dual_sub_f32 v13, v38, v21
	v_fma_f32 v22, 0x3f167918, v34, -v8
	s_delay_alu instid0(VALU_DEP_4) | instskip(NEXT) | instid1(VALU_DEP_2)
	v_dual_add_f32 v8, v29, v26 :: v_dual_sub_f32 v21, v31, v25
	v_add_f32_e32 v7, v23, v22
	v_sub_f32_e32 v22, v23, v22
	v_sub_f32_e32 v23, v29, v26
	ds_store_b128 v44, v[3:6]
	ds_store_b128 v44, v[16:19] offset:16
	ds_store_b128 v44, v[7:10] offset:32
	;; [unrolled: 1-line block ×4, first 2 shown]
	s_waitcnt lgkmcnt(0)
	s_barrier
	buffer_gl0_inv
	ds_load_2addr_b64 v[24:27], v84 offset1:100
	ds_load_2addr_b64 v[32:35], v28 offset0:72 offset1:172
	ds_load_2addr_b64 v[28:31], v1 offset0:144 offset1:244
	s_and_saveexec_b32 s0, vcc_lo
	s_cbranch_execz .LBB0_3
; %bb.2:
	ds_load_2addr_b64 v[12:15], v84 offset0:60 offset1:160
	ds_load_2addr_b64 v[20:23], v1 offset0:4 offset1:104
	;; [unrolled: 1-line block ×3, first 2 shown]
.LBB0_3:
	s_or_b32 exec_lo, exec_lo, s0
	v_and_b32_e32 v0, 0xff, v83
	v_add_nc_u16 v2, v83, 60
	s_delay_alu instid0(VALU_DEP_2) | instskip(NEXT) | instid1(VALU_DEP_2)
	v_mul_lo_u16 v0, 0xcd, v0
	v_and_b32_e32 v1, 0xff, v2
	s_delay_alu instid0(VALU_DEP_2) | instskip(NEXT) | instid1(VALU_DEP_2)
	v_lshrrev_b16 v47, 11, v0
	v_mul_lo_u16 v1, 0xcd, v1
	s_delay_alu instid0(VALU_DEP_2) | instskip(NEXT) | instid1(VALU_DEP_2)
	v_mul_lo_u16 v0, v47, 10
	v_lshrrev_b16 v55, 11, v1
	s_delay_alu instid0(VALU_DEP_2) | instskip(NEXT) | instid1(VALU_DEP_2)
	v_sub_nc_u16 v0, v83, v0
	v_mul_lo_u16 v3, v55, 10
	s_delay_alu instid0(VALU_DEP_2) | instskip(NEXT) | instid1(VALU_DEP_2)
	v_and_b32_e32 v48, 0xff, v0
	v_sub_nc_u16 v2, v2, v3
	s_delay_alu instid0(VALU_DEP_2)
	v_mad_u64_u32 v[0:1], null, v48, 40, s[10:11]
	s_clause 0x1
	global_load_b128 v[16:19], v[0:1], off
	global_load_b128 v[8:11], v[0:1], off offset:16
	v_and_b32_e32 v85, 0xff, v2
	global_load_b64 v[79:80], v[0:1], off offset:32
	v_mad_u64_u32 v[45:46], null, v85, 40, s[10:11]
	s_clause 0x2
	global_load_b128 v[4:7], v[45:46], off
	global_load_b128 v[0:3], v[45:46], off offset:16
	global_load_b64 v[77:78], v[45:46], off offset:32
	v_and_b32_e32 v45, 0xffff, v47
	s_waitcnt vmcnt(0) lgkmcnt(0)
	s_barrier
	buffer_gl0_inv
	v_mul_f32_e32 v49, v26, v17
	v_mul_f32_e32 v50, v34, v9
	v_mul_u32_u24_e32 v45, 60, v45
	v_mul_f32_e32 v46, v33, v19
	v_dual_mul_f32 v47, v32, v19 :: v_dual_mul_f32 v54, v30, v80
	s_delay_alu instid0(VALU_DEP_4) | instskip(NEXT) | instid1(VALU_DEP_4)
	v_dual_mul_f32 v51, v29, v11 :: v_dual_fmac_f32 v50, v35, v8
	v_add_lshl_u32 v86, v45, v48, 3
	v_mul_f32_e32 v45, v27, v17
	v_mul_f32_e32 v48, v35, v9
	v_dual_mul_f32 v52, v28, v11 :: v_dual_mul_f32 v53, v31, v80
	v_fmac_f32_e32 v49, v27, v16
	s_delay_alu instid0(VALU_DEP_4) | instskip(SKIP_1) | instid1(VALU_DEP_4)
	v_fma_f32 v81, v26, v16, -v45
	v_fma_f32 v32, v32, v18, -v46
	v_fmac_f32_e32 v52, v29, v10
	v_dual_fmac_f32 v47, v33, v18 :: v_dual_fmac_f32 v54, v31, v79
	v_fma_f32 v33, v34, v8, -v48
	v_fma_f32 v34, v28, v10, -v51
	;; [unrolled: 1-line block ×3, first 2 shown]
	v_dual_mul_f32 v31, v15, v5 :: v_dual_mul_f32 v48, v37, v3
	v_dual_mul_f32 v26, v14, v5 :: v_dual_mul_f32 v45, v21, v7
	;; [unrolled: 1-line block ×4, first 2 shown]
	v_mul_f32_e32 v46, v23, v1
	v_fma_f32 v14, v14, v4, -v31
	v_fmac_f32_e32 v26, v15, v4
	v_dual_fmac_f32 v30, v23, v0 :: v_dual_fmac_f32 v27, v37, v2
	v_fma_f32 v15, v36, v2, -v48
	v_dual_add_f32 v23, v24, v32 :: v_dual_fmac_f32 v28, v39, v77
	v_dual_add_f32 v31, v32, v34 :: v_dual_sub_f32 v36, v47, v52
	v_add_f32_e32 v37, v25, v47
	v_mul_f32_e32 v51, v39, v78
	v_fma_f32 v20, v20, v6, -v45
	v_fmac_f32_e32 v29, v21, v6
	v_fma_f32 v21, v22, v0, -v46
	v_dual_sub_f32 v32, v32, v34 :: v_dual_add_f32 v45, v33, v35
	v_dual_add_f32 v39, v81, v33 :: v_dual_add_f32 v48, v50, v54
	v_add_f32_e32 v23, v23, v34
	v_fma_f32 v34, -0.5, v31, v24
	v_add_f32_e32 v24, v37, v52
	v_fma_f32 v22, v38, v77, -v51
	v_dual_add_f32 v38, v47, v52 :: v_dual_add_f32 v47, v49, v50
	v_add_f32_e32 v52, v30, v28
	v_dual_sub_f32 v46, v50, v54 :: v_dual_sub_f32 v33, v33, v35
	s_delay_alu instid0(VALU_DEP_3)
	v_fma_f32 v82, -0.5, v38, v25
	v_add_f32_e32 v25, v39, v35
	v_dual_fmac_f32 v81, -0.5, v45 :: v_dual_add_f32 v50, v21, v22
	v_dual_add_f32 v31, v47, v54 :: v_dual_fmamk_f32 v54, v36, 0x3f5db3d7, v34
	v_fmac_f32_e32 v49, -0.5, v48
	v_dual_add_f32 v35, v20, v15 :: v_dual_fmac_f32 v34, 0xbf5db3d7, v36
	v_sub_f32_e32 v37, v29, v27
	v_sub_f32_e32 v39, v20, v15
	v_fmamk_f32 v87, v32, 0xbf5db3d7, v82
	v_fmac_f32_e32 v82, 0x3f5db3d7, v32
	v_fmamk_f32 v32, v46, 0x3f5db3d7, v81
	v_dual_fmac_f32 v81, 0xbf5db3d7, v46 :: v_dual_add_f32 v46, v24, v31
	v_dual_sub_f32 v51, v30, v28 :: v_dual_fmamk_f32 v36, v33, 0xbf5db3d7, v49
	v_fmac_f32_e32 v49, 0x3f5db3d7, v33
	v_fma_f32 v33, -0.5, v50, v14
	v_mul_f32_e32 v90, 0xbf5db3d7, v32
	v_add_f32_e32 v38, v29, v27
	v_dual_mul_f32 v88, 0x3f5db3d7, v36 :: v_dual_sub_f32 v53, v21, v22
	v_dual_sub_f32 v48, v24, v31 :: v_dual_add_f32 v45, v23, v25
	s_delay_alu instid0(VALU_DEP_4)
	v_dual_sub_f32 v47, v23, v25 :: v_dual_fmac_f32 v90, 0.5, v36
	v_fma_f32 v23, -0.5, v35, v12
	v_fma_f32 v35, -0.5, v52, v26
	v_dual_fmamk_f32 v92, v51, 0x3f5db3d7, v33 :: v_dual_mul_f32 v91, -0.5, v49
	v_dual_fmac_f32 v88, 0.5, v32 :: v_dual_mul_f32 v89, -0.5, v81
	v_fma_f32 v31, -0.5, v38, v13
	v_fmamk_f32 v24, v37, 0x3f5db3d7, v23
	v_dual_fmac_f32 v23, 0xbf5db3d7, v37 :: v_dual_add_f32 v50, v87, v90
	v_dual_mul_f32 v38, 0xbf5db3d7, v92 :: v_dual_fmac_f32 v91, 0xbf5db3d7, v81
	v_fmamk_f32 v93, v53, 0xbf5db3d7, v35
	v_fmac_f32_e32 v35, 0x3f5db3d7, v53
	v_sub_f32_e32 v53, v54, v88
	s_delay_alu instid0(VALU_DEP_4) | instskip(SKIP_4) | instid1(VALU_DEP_3)
	v_add_f32_e32 v52, v82, v91
	v_sub_f32_e32 v82, v82, v91
	v_dual_fmac_f32 v33, 0xbf5db3d7, v51 :: v_dual_fmac_f32 v38, 0.5, v93
	v_mul_f32_e32 v37, 0x3f5db3d7, v93
	v_fmamk_f32 v25, v39, 0xbf5db3d7, v31
	v_dual_fmac_f32 v31, 0x3f5db3d7, v39 :: v_dual_mul_f32 v36, -0.5, v33
	v_fmac_f32_e32 v89, 0x3f5db3d7, v49
	s_delay_alu instid0(VALU_DEP_4) | instskip(SKIP_1) | instid1(VALU_DEP_4)
	v_fmac_f32_e32 v37, 0.5, v92
	v_mul_f32_e32 v39, -0.5, v35
	v_dual_add_f32 v49, v54, v88 :: v_dual_fmac_f32 v36, 0x3f5db3d7, v35
	s_delay_alu instid0(VALU_DEP_4) | instskip(NEXT) | instid1(VALU_DEP_4)
	v_add_f32_e32 v51, v34, v89
	v_sub_f32_e32 v32, v24, v37
	s_delay_alu instid0(VALU_DEP_4) | instskip(SKIP_2) | instid1(VALU_DEP_3)
	v_fmac_f32_e32 v39, 0xbf5db3d7, v33
	v_dual_sub_f32 v81, v34, v89 :: v_dual_sub_f32 v54, v87, v90
	v_dual_sub_f32 v34, v23, v36 :: v_dual_sub_f32 v33, v25, v38
	v_sub_f32_e32 v35, v31, v39
	v_and_b32_e32 v87, 0xffff, v55
	ds_store_2addr_b64 v86, v[45:46], v[49:50] offset1:10
	ds_store_2addr_b64 v86, v[51:52], v[47:48] offset0:20 offset1:30
	ds_store_2addr_b64 v86, v[53:54], v[81:82] offset0:40 offset1:50
	s_and_saveexec_b32 s0, vcc_lo
	s_cbranch_execz .LBB0_5
; %bb.4:
	v_dual_add_f32 v13, v13, v29 :: v_dual_add_f32 v26, v26, v30
	v_add_f32_e32 v12, v12, v20
	s_delay_alu instid0(VALU_DEP_2) | instskip(NEXT) | instid1(VALU_DEP_3)
	v_add_f32_e32 v20, v13, v27
	v_dual_add_f32 v13, v31, v39 :: v_dual_add_f32 v26, v26, v28
	v_add_f32_e32 v14, v14, v21
	s_delay_alu instid0(VALU_DEP_4)
	v_add_f32_e32 v12, v12, v15
	v_mul_u32_u24_e32 v27, 60, v87
	v_add_f32_e32 v21, v25, v38
	v_sub_f32_e32 v15, v20, v26
	v_add_f32_e32 v22, v14, v22
	v_add_f32_e32 v25, v20, v26
	;; [unrolled: 1-line block ×3, first 2 shown]
	s_delay_alu instid0(VALU_DEP_3)
	v_sub_f32_e32 v14, v12, v22
	v_add_f32_e32 v24, v12, v22
	v_add_f32_e32 v12, v23, v36
	v_add_lshl_u32 v22, v27, v85, 3
	ds_store_2addr_b64 v22, v[24:25], v[20:21] offset1:10
	ds_store_2addr_b64 v22, v[12:13], v[14:15] offset0:20 offset1:30
	ds_store_2addr_b64 v22, v[32:33], v[34:35] offset0:40 offset1:50
.LBB0_5:
	s_or_b32 exec_lo, exec_lo, s0
	v_mad_u64_u32 v[36:37], null, 0x48, v83, s[10:11]
	s_waitcnt lgkmcnt(0)
	s_barrier
	buffer_gl0_inv
	v_add_co_u32 v45, s0, 0x12c0, v42
	s_delay_alu instid0(VALU_DEP_1)
	v_add_co_ci_u32_e64 v46, s0, 0, v43, s0
	s_clause 0x4
	global_load_b128 v[28:31], v[36:37], off offset:400
	global_load_b128 v[24:27], v[36:37], off offset:416
	;; [unrolled: 1-line block ×4, first 2 shown]
	global_load_b64 v[81:82], v[36:37], off offset:464
	ds_load_2addr_b64 v[36:39], v84 offset1:60
	ds_load_2addr_b64 v[49:52], v84 offset0:120 offset1:180
	v_add_nc_u32_e32 v48, 0x400, v84
	v_add_nc_u32_e32 v89, 0x800, v84
	s_waitcnt vmcnt(4) lgkmcnt(1)
	v_dual_mul_f32 v53, v38, v29 :: v_dual_add_nc_u32 v88, 0xc00, v84
	v_mul_f32_e32 v47, v39, v29
	ds_load_2addr_b64 v[90:93], v48 offset0:112 offset1:172
	s_waitcnt lgkmcnt(1)
	v_mul_f32_e32 v54, v50, v31
	ds_load_2addr_b64 v[94:97], v89 offset0:104 offset1:164
	ds_load_2addr_b64 v[98:101], v88 offset0:96 offset1:156
	s_waitcnt vmcnt(3)
	v_dual_mul_f32 v55, v49, v31 :: v_dual_mul_f32 v102, v52, v25
	v_mul_f32_e32 v103, v51, v25
	v_fma_f32 v47, v38, v28, -v47
	v_fma_f32 v38, v49, v30, -v54
	s_waitcnt vmcnt(2) lgkmcnt(2)
	v_dual_mul_f32 v104, v91, v27 :: v_dual_mul_f32 v107, v92, v21
	v_dual_mul_f32 v105, v90, v27 :: v_dual_mul_f32 v106, v93, v21
	s_waitcnt vmcnt(1) lgkmcnt(1)
	v_dual_mul_f32 v108, v95, v23 :: v_dual_mul_f32 v111, v96, v13
	v_dual_mul_f32 v109, v94, v23 :: v_dual_mul_f32 v110, v97, v13
	s_waitcnt vmcnt(0) lgkmcnt(0)
	v_dual_mul_f32 v112, v99, v15 :: v_dual_mul_f32 v115, v100, v82
	v_mul_f32_e32 v114, v101, v82
	v_fma_f32 v49, v90, v26, -v104
	v_fmac_f32_e32 v53, v39, v28
	v_fma_f32 v39, v51, v24, -v102
	v_fma_f32 v51, v94, v22, -v108
	v_fmac_f32_e32 v55, v50, v30
	v_fma_f32 v50, v92, v20, -v106
	;; [unrolled: 3-line block ×3, first 2 shown]
	v_fmac_f32_e32 v109, v95, v22
	v_fma_f32 v90, v100, v81, -v114
	v_dual_sub_f32 v102, v49, v51 :: v_dual_fmac_f32 v105, v91, v26
	v_add_f32_e32 v100, v37, v55
	v_add_f32_e32 v114, v50, v52
	v_mul_f32_e32 v113, v98, v15
	v_fmac_f32_e32 v107, v93, v20
	v_dual_fmac_f32 v111, v97, v12 :: v_dual_sub_f32 v104, v55, v105
	v_dual_fmac_f32 v115, v101, v81 :: v_dual_add_f32 v112, v47, v39
	v_add_f32_e32 v92, v49, v51
	v_sub_f32_e32 v94, v105, v109
	v_dual_sub_f32 v95, v38, v49 :: v_dual_sub_f32 v98, v49, v38
	v_fmac_f32_e32 v113, v99, v14
	v_dual_add_f32 v91, v36, v38 :: v_dual_sub_f32 v96, v54, v51
	v_add_f32_e32 v97, v38, v54
	v_sub_f32_e32 v99, v51, v54
	v_dual_add_f32 v101, v105, v109 :: v_dual_sub_f32 v116, v103, v115
	v_sub_f32_e32 v38, v38, v54
	v_dual_sub_f32 v118, v39, v50 :: v_dual_sub_f32 v119, v90, v52
	v_dual_add_f32 v120, v39, v90 :: v_dual_add_f32 v123, v53, v103
	v_dual_add_f32 v124, v107, v111 :: v_dual_sub_f32 v125, v50, v52
	v_add_f32_e32 v49, v91, v49
	v_fma_f32 v130, -0.5, v92, v36
	v_add_f32_e32 v91, v95, v96
	v_fma_f32 v95, -0.5, v97, v36
	v_add_f32_e32 v128, v103, v115
	v_dual_add_f32 v36, v98, v99 :: v_dual_sub_f32 v93, v55, v113
	v_sub_f32_e32 v122, v52, v90
	v_sub_f32_e32 v106, v113, v109
	v_dual_add_f32 v108, v55, v113 :: v_dual_sub_f32 v55, v105, v55
	v_dual_sub_f32 v110, v109, v113 :: v_dual_sub_f32 v117, v107, v111
	v_dual_add_f32 v92, v100, v105 :: v_dual_sub_f32 v121, v50, v39
	s_delay_alu instid0(VALU_DEP_4) | instskip(SKIP_2) | instid1(VALU_DEP_4)
	v_add_f32_e32 v96, v104, v106
	v_dual_sub_f32 v39, v39, v90 :: v_dual_add_f32 v98, v118, v119
	v_sub_f32_e32 v126, v103, v107
	v_dual_sub_f32 v127, v115, v111 :: v_dual_add_f32 v100, v121, v122
	v_dual_sub_f32 v103, v107, v103 :: v_dual_fmamk_f32 v106, v93, 0x3f737871, v130
	v_dual_sub_f32 v129, v111, v115 :: v_dual_fmac_f32 v130, 0xbf737871, v93
	v_fma_f32 v99, -0.5, v101, v37
	v_fma_f32 v97, -0.5, v108, v37
	v_add_f32_e32 v50, v112, v50
	v_add_f32_e32 v37, v55, v110
	v_fma_f32 v55, -0.5, v114, v47
	v_fmac_f32_e32 v47, -0.5, v120
	v_add_f32_e32 v101, v123, v107
	v_fma_f32 v104, -0.5, v124, v53
	v_fmamk_f32 v107, v94, 0xbf737871, v95
	v_fmac_f32_e32 v53, -0.5, v128
	v_add_f32_e32 v105, v126, v127
	v_dual_add_f32 v103, v103, v129 :: v_dual_fmac_f32 v106, 0x3f167918, v94
	v_dual_fmamk_f32 v108, v38, 0xbf737871, v99 :: v_dual_add_f32 v49, v49, v51
	v_dual_fmac_f32 v130, 0xbf167918, v94 :: v_dual_add_f32 v51, v92, v109
	v_add_f32_e32 v50, v50, v52
	s_delay_alu instid0(VALU_DEP_3) | instskip(SKIP_4) | instid1(VALU_DEP_4)
	v_fmac_f32_e32 v108, 0xbf167918, v102
	v_fmamk_f32 v52, v116, 0x3f737871, v55
	v_fmamk_f32 v92, v117, 0xbf737871, v47
	v_dual_add_f32 v101, v101, v111 :: v_dual_fmamk_f32 v110, v39, 0xbf737871, v104
	v_fmac_f32_e32 v104, 0x3f737871, v39
	v_fmac_f32_e32 v52, 0x3f167918, v117
	v_fmamk_f32 v111, v125, 0x3f737871, v53
	v_dual_add_f32 v49, v49, v54 :: v_dual_fmac_f32 v92, 0x3f167918, v116
	v_dual_add_f32 v51, v51, v113 :: v_dual_fmac_f32 v106, 0x3e9e377a, v91
	s_delay_alu instid0(VALU_DEP_3) | instskip(SKIP_1) | instid1(VALU_DEP_4)
	v_fmac_f32_e32 v111, 0xbf167918, v39
	v_fmac_f32_e32 v95, 0x3f737871, v94
	;; [unrolled: 1-line block ×3, first 2 shown]
	v_fmamk_f32 v109, v102, 0x3f737871, v97
	v_fmac_f32_e32 v130, 0x3e9e377a, v91
	v_fmac_f32_e32 v111, 0x3e9e377a, v103
	;; [unrolled: 1-line block ×5, first 2 shown]
	v_dual_fmac_f32 v109, 0xbf167918, v38 :: v_dual_fmac_f32 v110, 0xbf167918, v125
	v_mul_f32_e32 v94, 0x3f737871, v111
	v_fmac_f32_e32 v108, 0x3e9e377a, v96
	v_dual_fmac_f32 v99, 0x3f167918, v102 :: v_dual_fmac_f32 v104, 0x3f167918, v125
	s_delay_alu instid0(VALU_DEP_3) | instskip(SKIP_4) | instid1(VALU_DEP_4)
	v_dual_fmac_f32 v109, 0x3e9e377a, v37 :: v_dual_fmac_f32 v94, 0x3e9e377a, v92
	v_fmac_f32_e32 v53, 0x3f167918, v39
	v_fmac_f32_e32 v47, 0xbf167918, v116
	;; [unrolled: 1-line block ×3, first 2 shown]
	v_dual_fmac_f32 v99, 0x3e9e377a, v96 :: v_dual_fmac_f32 v52, 0x3e9e377a, v98
	v_fmac_f32_e32 v53, 0x3e9e377a, v103
	s_delay_alu instid0(VALU_DEP_4)
	v_fmac_f32_e32 v47, 0x3e9e377a, v100
	v_fmac_f32_e32 v97, 0xbf737871, v102
	v_fmac_f32_e32 v110, 0x3e9e377a, v105
	v_mul_f32_e32 v100, 0xbf167918, v52
	v_mul_f32_e32 v102, 0xbe9e377a, v53
	;; [unrolled: 1-line block ×3, first 2 shown]
	v_fmac_f32_e32 v104, 0x3e9e377a, v105
	s_delay_alu instid0(VALU_DEP_4) | instskip(NEXT) | instid1(VALU_DEP_4)
	v_fmac_f32_e32 v100, 0x3f4f1bbd, v110
	v_fmac_f32_e32 v102, 0xbf737871, v47
	;; [unrolled: 1-line block ×3, first 2 shown]
	v_add_f32_e32 v38, v50, v90
	v_dual_add_f32 v50, v101, v115 :: v_dual_fmac_f32 v95, 0xbf167918, v93
	v_fmac_f32_e32 v96, 0x3f737871, v53
	v_mul_f32_e32 v101, 0xbf737871, v92
	v_mul_f32_e32 v103, 0xbf4f1bbd, v104
	s_delay_alu instid0(VALU_DEP_4) | instskip(SKIP_3) | instid1(VALU_DEP_3)
	v_sub_f32_e32 v39, v51, v50
	v_fmac_f32_e32 v95, 0x3e9e377a, v36
	v_fmac_f32_e32 v97, 0x3e9e377a, v37
	;; [unrolled: 1-line block ×3, first 2 shown]
	v_add_f32_e32 v53, v95, v96
	v_dual_sub_f32 v96, v95, v96 :: v_dual_fmac_f32 v55, 0xbf167918, v117
	s_delay_alu instid0(VALU_DEP_4) | instskip(NEXT) | instid1(VALU_DEP_4)
	v_add_f32_e32 v54, v97, v102
	v_sub_f32_e32 v95, v109, v101
	v_sub_f32_e32 v97, v97, v102
	s_delay_alu instid0(VALU_DEP_4) | instskip(SKIP_1) | instid1(VALU_DEP_2)
	v_fmac_f32_e32 v55, 0x3e9e377a, v98
	v_dual_add_f32 v37, v51, v50 :: v_dual_add_f32 v50, v108, v100
	v_mul_f32_e32 v98, 0xbf4f1bbd, v55
	v_fmac_f32_e32 v107, 0x3f167918, v93
	v_mul_f32_e32 v93, 0x3f167918, v110
	v_fmac_f32_e32 v103, 0xbf167918, v55
	s_delay_alu instid0(VALU_DEP_4) | instskip(NEXT) | instid1(VALU_DEP_4)
	v_fmac_f32_e32 v98, 0x3f167918, v104
	v_fmac_f32_e32 v107, 0x3e9e377a, v36
	s_delay_alu instid0(VALU_DEP_4) | instskip(SKIP_1) | instid1(VALU_DEP_3)
	v_dual_fmac_f32 v93, 0x3f4f1bbd, v52 :: v_dual_add_f32 v36, v49, v38
	v_sub_f32_e32 v38, v49, v38
	v_dual_add_f32 v52, v109, v101 :: v_dual_add_f32 v51, v107, v94
	s_delay_alu instid0(VALU_DEP_3)
	v_add_f32_e32 v49, v106, v93
	v_dual_add_f32 v90, v130, v98 :: v_dual_add_f32 v91, v99, v103
	v_sub_f32_e32 v92, v106, v93
	v_dual_sub_f32 v94, v107, v94 :: v_dual_sub_f32 v93, v108, v100
	v_dual_sub_f32 v98, v130, v98 :: v_dual_sub_f32 v99, v99, v103
	ds_store_2addr_b64 v84, v[36:37], v[49:50] offset1:60
	ds_store_2addr_b64 v84, v[51:52], v[53:54] offset0:120 offset1:180
	ds_store_2addr_b64 v48, v[90:91], v[38:39] offset0:112 offset1:172
	;; [unrolled: 1-line block ×4, first 2 shown]
	s_waitcnt lgkmcnt(0)
	s_barrier
	buffer_gl0_inv
	s_clause 0x6
	global_load_b64 v[40:41], v[40:41], off offset:704
	global_load_b64 v[49:50], v[45:46], off offset:480
	;; [unrolled: 1-line block ×7, first 2 shown]
	v_add_co_u32 v36, s0, 0x2000, v42
	s_delay_alu instid0(VALU_DEP_1)
	v_add_co_ci_u32_e64 v37, s0, 0, v43, s0
	s_clause 0x2
	global_load_b64 v[102:103], v[45:46], off offset:3360
	global_load_b64 v[45:46], v[45:46], off offset:3840
	;; [unrolled: 1-line block ×3, first 2 shown]
	ds_load_2addr_b64 v[36:39], v84 offset1:60
	s_waitcnt vmcnt(9) lgkmcnt(0)
	v_mul_f32_e32 v43, v37, v41
	s_waitcnt vmcnt(8)
	v_dual_mul_f32 v42, v36, v41 :: v_dual_mul_f32 v47, v39, v50
	v_mul_f32_e32 v51, v38, v50
	s_delay_alu instid0(VALU_DEP_3) | instskip(NEXT) | instid1(VALU_DEP_3)
	v_fma_f32 v41, v36, v40, -v43
	v_fmac_f32_e32 v42, v37, v40
	s_delay_alu instid0(VALU_DEP_4) | instskip(NEXT) | instid1(VALU_DEP_4)
	v_fma_f32 v50, v38, v49, -v47
	v_fmac_f32_e32 v51, v39, v49
	ds_store_2addr_b64 v84, v[41:42], v[50:51] offset1:60
	ds_load_2addr_b64 v[36:39], v84 offset0:120 offset1:180
	ds_load_2addr_b64 v[40:43], v48 offset0:112 offset1:172
	;; [unrolled: 1-line block ×4, first 2 shown]
	s_waitcnt vmcnt(7) lgkmcnt(3)
	v_mul_f32_e32 v55, v37, v54
	v_mul_f32_e32 v47, v36, v54
	s_waitcnt vmcnt(6)
	v_mul_f32_e32 v107, v39, v95
	v_mul_f32_e32 v54, v38, v95
	s_waitcnt vmcnt(5) lgkmcnt(2)
	v_mul_f32_e32 v108, v41, v97
	v_mul_f32_e32 v95, v40, v97
	s_waitcnt vmcnt(4)
	v_mul_f32_e32 v109, v43, v99
	v_mul_f32_e32 v97, v42, v99
	;; [unrolled: 6-line block ×4, first 2 shown]
	v_fma_f32 v46, v36, v53, -v55
	v_fmac_f32_e32 v47, v37, v53
	v_fma_f32 v53, v38, v94, -v107
	v_fmac_f32_e32 v54, v39, v94
	;; [unrolled: 2-line block ×8, first 2 shown]
	ds_store_2addr_b64 v84, v[46:47], v[53:54] offset0:120 offset1:180
	ds_store_2addr_b64 v48, v[94:95], v[96:97] offset0:112 offset1:172
	;; [unrolled: 1-line block ×4, first 2 shown]
	s_waitcnt lgkmcnt(0)
	s_barrier
	buffer_gl0_inv
	ds_load_2addr_b64 v[36:39], v84 offset1:60
	ds_load_2addr_b64 v[40:43], v84 offset0:120 offset1:180
	ds_load_2addr_b64 v[49:52], v48 offset0:112 offset1:172
	;; [unrolled: 1-line block ×4, first 2 shown]
	s_waitcnt lgkmcnt(0)
	s_barrier
	buffer_gl0_inv
	v_add_f32_e32 v117, v39, v43
	v_sub_f32_e32 v120, v43, v52
	v_add_f32_e32 v118, v52, v93
	v_sub_f32_e32 v110, v43, v97
	v_sub_f32_e32 v119, v51, v92
	;; [unrolled: 1-line block ×5, first 2 shown]
	v_dual_add_f32 v122, v43, v97 :: v_dual_sub_f32 v43, v52, v43
	v_add_f32_e32 v52, v117, v52
	v_add_f32_e32 v46, v49, v90
	v_sub_f32_e32 v54, v40, v49
	v_dual_add_f32 v98, v40, v94 :: v_dual_sub_f32 v99, v49, v40
	v_sub_f32_e32 v100, v90, v94
	v_dual_add_f32 v102, v50, v91 :: v_dual_sub_f32 v103, v49, v90
	v_dual_add_f32 v52, v52, v93 :: v_dual_sub_f32 v53, v50, v91
	v_add_f32_e32 v45, v36, v40
	v_dual_sub_f32 v55, v94, v90 :: v_dual_add_f32 v106, v41, v95
	v_add_f32_e32 v101, v37, v41
	v_dual_sub_f32 v104, v41, v50 :: v_dual_sub_f32 v107, v91, v95
	v_add_f32_e32 v108, v38, v42
	v_dual_sub_f32 v112, v42, v51 :: v_dual_sub_f32 v113, v96, v92
	v_add_f32_e32 v45, v45, v49
	v_fma_f32 v46, -0.5, v46, v36
	v_add_f32_e32 v49, v54, v55
	v_fma_f32 v54, -0.5, v98, v36
	;; [unrolled: 2-line block ×3, first 2 shown]
	v_fma_f32 v99, -0.5, v106, v37
	v_fma_f32 v102, -0.5, v118, v39
	v_fmac_f32_e32 v39, -0.5, v122
	v_sub_f32_e32 v41, v50, v41
	v_add_f32_e32 v114, v42, v96
	v_add_f32_e32 v100, v112, v113
	v_sub_f32_e32 v40, v40, v94
	s_delay_alu instid0(VALU_DEP_4) | instskip(SKIP_3) | instid1(VALU_DEP_3)
	v_dual_fmamk_f32 v112, v119, 0xbf737871, v39 :: v_dual_add_f32 v37, v41, v107
	v_dual_add_f32 v41, v108, v51 :: v_dual_fmamk_f32 v108, v103, 0xbf737871, v99
	v_dual_fmamk_f32 v106, v53, 0x3f737871, v54 :: v_dual_add_f32 v109, v51, v92
	v_dual_sub_f32 v115, v51, v42 :: v_dual_sub_f32 v42, v42, v96
	v_dual_fmac_f32 v108, 0x3f167918, v40 :: v_dual_sub_f32 v105, v95, v91
	v_add_f32_e32 v50, v101, v50
	s_delay_alu instid0(VALU_DEP_4)
	v_fma_f32 v51, -0.5, v109, v38
	v_fma_f32 v38, -0.5, v114, v38
	v_fmac_f32_e32 v54, 0xbf737871, v53
	v_fmamk_f32 v109, v42, 0x3f737871, v102
	v_add_f32_e32 v50, v50, v91
	v_fmac_f32_e32 v102, 0xbf737871, v42
	v_add_f32_e32 v98, v104, v105
	v_add_f32_e32 v104, v120, v121
	v_dual_fmac_f32 v106, 0xbf167918, v47 :: v_dual_sub_f32 v123, v93, v97
	v_fmac_f32_e32 v54, 0x3f167918, v47
	v_fmamk_f32 v91, v111, 0x3f737871, v38
	v_fmac_f32_e32 v38, 0xbf737871, v111
	v_dual_sub_f32 v116, v92, v96 :: v_dual_fmamk_f32 v105, v47, 0xbf737871, v46
	v_fmac_f32_e32 v46, 0x3f737871, v47
	v_fmac_f32_e32 v112, 0x3f167918, v42
	s_delay_alu instid0(VALU_DEP_4)
	v_fmac_f32_e32 v38, 0x3f167918, v110
	v_fmac_f32_e32 v102, 0xbf167918, v119
	v_dual_fmac_f32 v106, 0x3e9e377a, v36 :: v_dual_add_f32 v43, v43, v123
	v_fmac_f32_e32 v54, 0x3e9e377a, v36
	v_fmac_f32_e32 v99, 0x3f737871, v103
	v_fmac_f32_e32 v46, 0x3f167918, v53
	v_fmac_f32_e32 v91, 0xbf167918, v110
	v_fmac_f32_e32 v102, 0x3e9e377a, v104
	v_dual_add_f32 v101, v115, v116 :: v_dual_fmac_f32 v112, 0x3e9e377a, v43
	v_fmac_f32_e32 v99, 0xbf167918, v40
	v_add_f32_e32 v47, v50, v95
	v_dual_add_f32 v45, v45, v90 :: v_dual_fmamk_f32 v90, v110, 0xbf737871, v51
	v_fmac_f32_e32 v108, 0x3e9e377a, v37
	v_fmac_f32_e32 v46, 0x3e9e377a, v49
	;; [unrolled: 1-line block ×4, first 2 shown]
	v_mul_f32_e32 v37, 0xbf737871, v112
	v_fmac_f32_e32 v90, 0xbf167918, v111
	v_fmac_f32_e32 v109, 0x3f167918, v119
	;; [unrolled: 1-line block ×8, first 2 shown]
	v_add_f32_e32 v41, v41, v92
	v_fmamk_f32 v107, v40, 0x3f737871, v55
	v_fmac_f32_e32 v39, 0xbf167918, v42
	v_fmac_f32_e32 v51, 0x3f167918, v111
	v_mul_f32_e32 v36, 0xbf167918, v109
	s_delay_alu instid0(VALU_DEP_3) | instskip(SKIP_2) | instid1(VALU_DEP_4)
	v_fmac_f32_e32 v39, 0x3e9e377a, v43
	v_fmac_f32_e32 v55, 0xbf737871, v40
	v_dual_add_f32 v40, v41, v96 :: v_dual_add_f32 v41, v52, v97
	v_fmac_f32_e32 v36, 0x3f4f1bbd, v90
	v_fmac_f32_e32 v51, 0x3e9e377a, v100
	s_delay_alu instid0(VALU_DEP_3) | instskip(SKIP_1) | instid1(VALU_DEP_1)
	v_dual_mul_f32 v43, 0x3f167918, v90 :: v_dual_add_f32 v50, v47, v41
	v_dual_add_f32 v45, v45, v94 :: v_dual_add_f32 v94, v106, v37
	v_dual_fmac_f32 v43, 0x3f4f1bbd, v109 :: v_dual_sub_f32 v92, v45, v40
	v_fmac_f32_e32 v105, 0xbf167918, v53
	v_mul_f32_e32 v53, 0xbf4f1bbd, v102
	s_delay_alu instid0(VALU_DEP_2) | instskip(SKIP_4) | instid1(VALU_DEP_4)
	v_fmac_f32_e32 v105, 0x3e9e377a, v49
	v_dual_add_f32 v49, v45, v40 :: v_dual_mul_f32 v40, 0xbf737871, v39
	v_mul_f32_e32 v45, 0x3e9e377a, v112
	v_fmac_f32_e32 v55, 0xbf167918, v103
	v_fmac_f32_e32 v53, 0x3f167918, v51
	v_dual_fmac_f32 v40, 0xbe9e377a, v38 :: v_dual_sub_f32 v93, v47, v41
	v_mul_f32_e32 v41, 0xbf167918, v102
	v_mul_f32_e32 v47, 0xbe9e377a, v39
	v_fmac_f32_e32 v45, 0x3f737871, v91
	s_delay_alu instid0(VALU_DEP_4) | instskip(NEXT) | instid1(VALU_DEP_4)
	v_dual_fmac_f32 v55, 0x3e9e377a, v98 :: v_dual_add_f32 v96, v54, v40
	v_dual_sub_f32 v40, v54, v40 :: v_dual_fmac_f32 v41, 0xbf4f1bbd, v51
	v_fmac_f32_e32 v107, 0x3f167918, v103
	v_fmac_f32_e32 v47, 0x3f737871, v38
	v_add_f32_e32 v51, v105, v36
	v_add_f32_e32 v95, v108, v45
	s_delay_alu instid0(VALU_DEP_4) | instskip(NEXT) | instid1(VALU_DEP_4)
	v_dual_sub_f32 v42, v46, v41 :: v_dual_fmac_f32 v107, 0x3e9e377a, v98
	v_dual_add_f32 v97, v99, v47 :: v_dual_add_f32 v90, v46, v41
	v_dual_add_f32 v91, v55, v53 :: v_dual_sub_f32 v36, v105, v36
	s_delay_alu instid0(VALU_DEP_3)
	v_add_f32_e32 v52, v107, v43
	v_dual_sub_f32 v38, v106, v37 :: v_dual_sub_f32 v37, v107, v43
	v_sub_f32_e32 v39, v108, v45
	v_sub_f32_e32 v41, v99, v47
	;; [unrolled: 1-line block ×3, first 2 shown]
	ds_store_b128 v44, v[49:52]
	ds_store_b128 v44, v[94:97] offset:16
	ds_store_b128 v44, v[90:93] offset:32
	;; [unrolled: 1-line block ×4, first 2 shown]
	s_waitcnt lgkmcnt(0)
	s_barrier
	buffer_gl0_inv
	ds_load_2addr_b64 v[44:47], v84 offset1:100
	ds_load_2addr_b64 v[52:55], v48 offset0:72 offset1:172
	ds_load_2addr_b64 v[48:51], v89 offset0:144 offset1:244
	s_and_saveexec_b32 s0, vcc_lo
	s_cbranch_execz .LBB0_7
; %bb.6:
	ds_load_2addr_b64 v[36:39], v84 offset0:60 offset1:160
	ds_load_2addr_b64 v[40:43], v89 offset0:4 offset1:104
	ds_load_2addr_b64 v[32:35], v88 offset0:76 offset1:176
.LBB0_7:
	s_or_b32 exec_lo, exec_lo, s0
	s_waitcnt lgkmcnt(1)
	v_dual_mul_f32 v88, v17, v47 :: v_dual_mul_f32 v89, v19, v53
	v_mul_f32_e32 v17, v17, v46
	v_mul_f32_e32 v19, v19, v52
	s_waitcnt lgkmcnt(0)
	s_delay_alu instid0(VALU_DEP_3)
	v_fmac_f32_e32 v88, v16, v46
	v_mul_f32_e32 v46, v11, v49
	v_fma_f32 v16, v16, v47, -v17
	v_mul_f32_e32 v17, v9, v55
	s_barrier
	buffer_gl0_inv
	v_fmac_f32_e32 v46, v10, v48
	v_fmac_f32_e32 v89, v18, v52
	v_fma_f32 v18, v18, v53, -v19
	v_mul_f32_e32 v11, v11, v48
	v_fmac_f32_e32 v17, v8, v54
	v_mul_f32_e32 v19, v80, v51
	s_delay_alu instid0(VALU_DEP_3) | instskip(SKIP_1) | instid1(VALU_DEP_2)
	v_fma_f32 v10, v10, v49, -v11
	v_add_f32_e32 v11, v89, v46
	v_add_f32_e32 v48, v18, v10
	s_delay_alu instid0(VALU_DEP_2) | instskip(SKIP_3) | instid1(VALU_DEP_1)
	v_fma_f32 v49, -0.5, v11, v44
	v_sub_f32_e32 v11, v18, v10
	v_mul_f32_e32 v9, v9, v54
	v_dual_add_f32 v18, v45, v18 :: v_dual_add_f32 v47, v44, v89
	v_add_f32_e32 v44, v47, v46
	v_fma_f32 v47, -0.5, v48, v45
	s_delay_alu instid0(VALU_DEP_3) | instskip(SKIP_4) | instid1(VALU_DEP_4)
	v_add_f32_e32 v48, v18, v10
	v_dual_sub_f32 v45, v89, v46 :: v_dual_fmamk_f32 v46, v11, 0xbf5db3d7, v49
	v_fma_f32 v8, v8, v55, -v9
	v_mul_f32_e32 v9, v80, v50
	v_fmac_f32_e32 v19, v79, v50
	v_fmamk_f32 v50, v45, 0x3f5db3d7, v47
	s_delay_alu instid0(VALU_DEP_4) | instskip(NEXT) | instid1(VALU_DEP_4)
	v_dual_fmac_f32 v49, 0x3f5db3d7, v11 :: v_dual_add_f32 v18, v16, v8
	v_fma_f32 v9, v79, v51, -v9
	s_delay_alu instid0(VALU_DEP_1) | instskip(SKIP_1) | instid1(VALU_DEP_4)
	v_add_f32_e32 v11, v8, v9
	v_sub_f32_e32 v8, v8, v9
	v_add_f32_e32 v52, v18, v9
	s_delay_alu instid0(VALU_DEP_3) | instskip(SKIP_2) | instid1(VALU_DEP_2)
	v_fmac_f32_e32 v16, -0.5, v11
	v_add_f32_e32 v10, v17, v19
	v_sub_f32_e32 v11, v17, v19
	v_dual_add_f32 v17, v88, v17 :: v_dual_fmac_f32 v88, -0.5, v10
	s_delay_alu instid0(VALU_DEP_2) | instskip(SKIP_1) | instid1(VALU_DEP_3)
	v_fmamk_f32 v10, v11, 0x3f5db3d7, v16
	v_dual_fmac_f32 v16, 0xbf5db3d7, v11 :: v_dual_fmac_f32 v47, 0xbf5db3d7, v45
	v_fmamk_f32 v11, v8, 0xbf5db3d7, v88
	v_fmac_f32_e32 v88, 0x3f5db3d7, v8
	s_delay_alu instid0(VALU_DEP_3) | instskip(NEXT) | instid1(VALU_DEP_1)
	v_dual_mul_f32 v54, -0.5, v16 :: v_dual_add_f32 v19, v17, v19
	v_fmac_f32_e32 v54, 0x3f5db3d7, v88
	s_delay_alu instid0(VALU_DEP_2) | instskip(SKIP_1) | instid1(VALU_DEP_3)
	v_dual_mul_f32 v45, 0xbf5db3d7, v10 :: v_dual_add_f32 v8, v44, v19
	v_dual_mul_f32 v51, 0xbf5db3d7, v16 :: v_dual_sub_f32 v18, v44, v19
	v_add_f32_e32 v17, v47, v54
	s_delay_alu instid0(VALU_DEP_3) | instskip(SKIP_1) | instid1(VALU_DEP_4)
	v_fmac_f32_e32 v45, 0.5, v11
	v_sub_f32_e32 v19, v48, v52
	v_fmac_f32_e32 v51, -0.5, v88
	v_add_f32_e32 v9, v48, v52
	s_delay_alu instid0(VALU_DEP_4) | instskip(NEXT) | instid1(VALU_DEP_3)
	v_dual_sub_f32 v47, v47, v54 :: v_dual_sub_f32 v44, v46, v45
	v_dual_mul_f32 v53, 0.5, v10 :: v_dual_add_f32 v16, v49, v51
	v_add_f32_e32 v10, v46, v45
	v_sub_f32_e32 v46, v49, v51
	s_delay_alu instid0(VALU_DEP_3) | instskip(NEXT) | instid1(VALU_DEP_1)
	v_fmac_f32_e32 v53, 0x3f5db3d7, v11
	v_add_f32_e32 v11, v50, v53
	v_sub_f32_e32 v45, v50, v53
	ds_store_2addr_b64 v86, v[8:9], v[10:11] offset1:10
	ds_store_2addr_b64 v86, v[16:17], v[18:19] offset0:20 offset1:30
	ds_store_2addr_b64 v86, v[44:45], v[46:47] offset0:40 offset1:50
	s_and_saveexec_b32 s0, vcc_lo
	s_cbranch_execz .LBB0_9
; %bb.8:
	v_mul_f32_e32 v8, v7, v40
	v_dual_mul_f32 v9, v3, v32 :: v_dual_mul_f32 v10, v1, v43
	v_dual_mul_f32 v1, v1, v42 :: v_dual_mul_f32 v16, v78, v35
	v_mul_f32_e32 v17, v5, v38
	s_delay_alu instid0(VALU_DEP_4) | instskip(NEXT) | instid1(VALU_DEP_4)
	v_fma_f32 v8, v6, v41, -v8
	v_fma_f32 v9, v2, v33, -v9
	v_mul_f32_e32 v11, v78, v34
	v_fma_f32 v18, v0, v43, -v1
	v_dual_mul_f32 v5, v5, v39 :: v_dual_fmac_f32 v10, v0, v42
	s_delay_alu instid0(VALU_DEP_4) | instskip(SKIP_2) | instid1(VALU_DEP_4)
	v_dual_add_f32 v1, v8, v9 :: v_dual_fmac_f32 v16, v77, v34
	v_mul_f32_e32 v19, v3, v33
	v_fma_f32 v11, v77, v35, -v11
	v_fmac_f32_e32 v5, v4, v38
	v_fma_f32 v0, v4, v39, -v17
	s_delay_alu instid0(VALU_DEP_4) | instskip(SKIP_4) | instid1(VALU_DEP_3)
	v_fmac_f32_e32 v19, v2, v32
	v_fma_f32 v32, -0.5, v1, v37
	v_add_f32_e32 v3, v10, v16
	v_add_f32_e32 v17, v18, v11
	v_dual_add_f32 v37, v37, v8 :: v_dual_sub_f32 v8, v8, v9
	v_fma_f32 v2, -0.5, v3, v5
	v_sub_f32_e32 v3, v18, v11
	v_mul_f32_e32 v7, v7, v41
	v_fma_f32 v4, -0.5, v17, v0
	v_add_f32_e32 v0, v0, v18
	s_delay_alu instid0(VALU_DEP_3) | instskip(SKIP_1) | instid1(VALU_DEP_3)
	v_dual_add_f32 v18, v37, v9 :: v_dual_fmac_f32 v7, v6, v40
	v_sub_f32_e32 v17, v10, v16
	v_add_f32_e32 v11, v0, v11
	s_delay_alu instid0(VALU_DEP_3) | instskip(NEXT) | instid1(VALU_DEP_3)
	v_add_f32_e32 v38, v7, v19
	v_fmamk_f32 v6, v17, 0xbf5db3d7, v4
	v_dual_fmac_f32 v4, 0x3f5db3d7, v17 :: v_dual_sub_f32 v1, v7, v19
	v_dual_fmamk_f32 v17, v3, 0x3f5db3d7, v2 :: v_dual_add_f32 v0, v36, v7
	s_delay_alu instid0(VALU_DEP_4) | instskip(NEXT) | instid1(VALU_DEP_4)
	v_fma_f32 v37, -0.5, v38, v36
	v_mul_f32_e32 v33, -0.5, v6
	v_mul_f32_e32 v6, 0xbf5db3d7, v6
	v_fmac_f32_e32 v2, 0xbf5db3d7, v3
	v_mul_f32_e32 v34, 0.5, v4
	v_fmamk_f32 v36, v8, 0x3f5db3d7, v37
	v_fmamk_f32 v35, v1, 0xbf5db3d7, v32
	v_add_f32_e32 v5, v5, v10
	v_fmac_f32_e32 v33, 0x3f5db3d7, v17
	v_dual_fmac_f32 v6, -0.5, v17 :: v_dual_mul_f32 v17, 0xbf5db3d7, v4
	v_fmac_f32_e32 v32, 0x3f5db3d7, v1
	v_fmac_f32_e32 v34, 0x3f5db3d7, v2
	v_add_f32_e32 v10, v0, v19
	v_dual_add_f32 v16, v5, v16 :: v_dual_sub_f32 v1, v35, v33
	v_dual_sub_f32 v0, v36, v6 :: v_dual_fmac_f32 v37, 0xbf5db3d7, v8
	v_add_f32_e32 v6, v36, v6
	v_fmac_f32_e32 v17, 0.5, v2
	v_mul_u32_u24_e32 v2, 60, v87
	v_dual_sub_f32 v3, v32, v34 :: v_dual_sub_f32 v4, v10, v16
	s_delay_alu instid0(VALU_DEP_3)
	v_dual_add_f32 v9, v32, v34 :: v_dual_add_f32 v8, v37, v17
	v_sub_f32_e32 v5, v18, v11
	v_add_f32_e32 v11, v18, v11
	v_add_f32_e32 v10, v10, v16
	v_add_lshl_u32 v16, v2, v85, 3
	v_sub_f32_e32 v2, v37, v17
	v_add_f32_e32 v7, v35, v33
	ds_store_2addr_b64 v16, v[10:11], v[8:9] offset1:10
	ds_store_2addr_b64 v16, v[6:7], v[4:5] offset0:20 offset1:30
	ds_store_2addr_b64 v16, v[2:3], v[0:1] offset0:40 offset1:50
.LBB0_9:
	s_or_b32 exec_lo, exec_lo, s0
	s_waitcnt lgkmcnt(0)
	s_barrier
	buffer_gl0_inv
	ds_load_2addr_b64 v[2:5], v84 offset1:60
	ds_load_2addr_b64 v[6:9], v84 offset0:120 offset1:180
	v_add_nc_u32_e32 v40, 0x400, v84
	v_add_nc_u32_e32 v0, 0xc00, v84
	s_mov_b32 s0, 0xb4e81b4f
	s_mov_b32 s1, 0x3f5b4e81
	s_waitcnt lgkmcnt(1)
	v_mul_f32_e32 v11, v29, v5
	ds_load_2addr_b64 v[16:19], v40 offset0:112 offset1:172
	v_add_nc_u32_e32 v1, 0x800, v84
	s_waitcnt lgkmcnt(1)
	v_dual_mul_f32 v10, v29, v4 :: v_dual_mul_f32 v29, v31, v7
	v_mul_f32_e32 v31, v31, v6
	v_mul_f32_e32 v41, v25, v9
	s_delay_alu instid0(VALU_DEP_3)
	v_fma_f32 v5, v28, v5, -v10
	s_waitcnt lgkmcnt(0)
	v_mul_f32_e32 v10, v21, v18
	ds_load_2addr_b64 v[32:35], v1 offset0:104 offset1:164
	ds_load_2addr_b64 v[36:39], v0 offset0:96 offset1:156
	v_mul_f32_e32 v25, v25, v8
	v_fmac_f32_e32 v29, v30, v6
	v_fmac_f32_e32 v11, v28, v4
	v_fma_f32 v10, v20, v19, -v10
	v_fma_f32 v4, v30, v7, -v31
	;; [unrolled: 1-line block ×3, first 2 shown]
	s_delay_alu instid0(VALU_DEP_2) | instskip(SKIP_1) | instid1(VALU_DEP_1)
	v_dual_mul_f32 v9, v21, v19 :: v_dual_add_f32 v30, v3, v4
	s_waitcnt lgkmcnt(0)
	v_dual_fmac_f32 v9, v20, v18 :: v_dual_mul_f32 v18, v15, v36
	v_dual_mul_f32 v15, v15, v37 :: v_dual_mul_f32 v20, v82, v39
	v_fmac_f32_e32 v41, v24, v8
	v_mul_f32_e32 v8, v27, v16
	s_delay_alu instid0(VALU_DEP_4) | instskip(NEXT) | instid1(VALU_DEP_4)
	v_fma_f32 v18, v14, v37, -v18
	v_dual_fmac_f32 v15, v14, v36 :: v_dual_fmac_f32 v20, v81, v38
	s_delay_alu instid0(VALU_DEP_3) | instskip(SKIP_2) | instid1(VALU_DEP_2)
	v_fma_f32 v8, v26, v17, -v8
	v_mul_f32_e32 v7, v27, v17
	v_mul_f32_e32 v27, v82, v38
	v_fmac_f32_e32 v7, v26, v16
	v_mul_f32_e32 v16, v23, v32
	v_dual_add_f32 v26, v29, v15 :: v_dual_mul_f32 v21, v23, v33
	s_delay_alu instid0(VALU_DEP_3) | instskip(NEXT) | instid1(VALU_DEP_3)
	v_dual_sub_f32 v23, v4, v18 :: v_dual_sub_f32 v24, v29, v7
	v_fma_f32 v16, v22, v33, -v16
	s_delay_alu instid0(VALU_DEP_3) | instskip(SKIP_1) | instid1(VALU_DEP_2)
	v_fmac_f32_e32 v21, v22, v32
	v_add_f32_e32 v22, v2, v29
	v_add_f32_e32 v19, v7, v21
	s_delay_alu instid0(VALU_DEP_1) | instskip(SKIP_1) | instid1(VALU_DEP_2)
	v_fma_f32 v19, -0.5, v19, v2
	v_mul_f32_e32 v17, v13, v35
	v_dual_mul_f32 v13, v13, v34 :: v_dual_fmamk_f32 v14, v23, 0xbf737871, v19
	s_delay_alu instid0(VALU_DEP_2) | instskip(NEXT) | instid1(VALU_DEP_2)
	v_fmac_f32_e32 v17, v12, v34
	v_fma_f32 v12, v12, v35, -v13
	v_dual_add_f32 v13, v22, v7 :: v_dual_sub_f32 v22, v8, v16
	v_fmac_f32_e32 v19, 0x3f737871, v23
	s_delay_alu instid0(VALU_DEP_2) | instskip(NEXT) | instid1(VALU_DEP_2)
	v_dual_fmac_f32 v14, 0xbf167918, v22 :: v_dual_sub_f32 v25, v15, v21
	v_dual_fmac_f32 v19, 0x3f167918, v22 :: v_dual_sub_f32 v28, v21, v15
	s_delay_alu instid0(VALU_DEP_2) | instskip(SKIP_3) | instid1(VALU_DEP_4)
	v_add_f32_e32 v24, v24, v25
	v_fma_f32 v25, -0.5, v26, v2
	v_fma_f32 v2, v81, v39, -v27
	v_sub_f32_e32 v27, v7, v29
	v_dual_sub_f32 v7, v7, v21 :: v_dual_fmac_f32 v14, 0x3e9e377a, v24
	s_delay_alu instid0(VALU_DEP_4) | instskip(SKIP_3) | instid1(VALU_DEP_4)
	v_fmamk_f32 v26, v22, 0x3f737871, v25
	v_dual_fmac_f32 v19, 0x3e9e377a, v24 :: v_dual_add_f32 v24, v4, v18
	v_add_f32_e32 v31, v8, v16
	v_fmac_f32_e32 v25, 0xbf737871, v22
	v_fmac_f32_e32 v26, 0xbf167918, v23
	v_dual_add_f32 v22, v30, v8 :: v_dual_add_f32 v13, v13, v21
	v_sub_f32_e32 v21, v4, v8
	v_fma_f32 v24, -0.5, v24, v3
	v_sub_f32_e32 v4, v8, v4
	v_dual_sub_f32 v8, v16, v18 :: v_dual_add_f32 v27, v27, v28
	v_add_f32_e32 v22, v22, v16
	v_fma_f32 v28, -0.5, v31, v3
	v_sub_f32_e32 v30, v17, v20
	s_delay_alu instid0(VALU_DEP_4)
	v_add_f32_e32 v4, v4, v8
	v_fmac_f32_e32 v26, 0x3e9e377a, v27
	v_dual_add_f32 v13, v13, v15 :: v_dual_add_f32 v22, v22, v18
	v_sub_f32_e32 v15, v29, v15
	v_sub_f32_e32 v29, v18, v16
	v_dual_fmac_f32 v25, 0x3f167918, v23 :: v_dual_add_f32 v16, v11, v41
	v_add_f32_e32 v8, v9, v17
	s_delay_alu instid0(VALU_DEP_3) | instskip(SKIP_2) | instid1(VALU_DEP_1)
	v_add_f32_e32 v3, v21, v29
	v_fmamk_f32 v21, v7, 0xbf737871, v24
	v_dual_fmac_f32 v24, 0x3f737871, v7 :: v_dual_sub_f32 v29, v9, v41
	v_fmac_f32_e32 v24, 0xbf167918, v15
	s_delay_alu instid0(VALU_DEP_1) | instskip(SKIP_3) | instid1(VALU_DEP_2)
	v_fmac_f32_e32 v24, 0x3e9e377a, v4
	v_fmamk_f32 v23, v15, 0x3f737871, v28
	v_fmac_f32_e32 v28, 0xbf737871, v15
	v_fmac_f32_e32 v21, 0x3f167918, v15
	v_dual_sub_f32 v15, v6, v2 :: v_dual_fmac_f32 v28, 0xbf167918, v7
	s_delay_alu instid0(VALU_DEP_2) | instskip(NEXT) | instid1(VALU_DEP_2)
	v_dual_fmac_f32 v21, 0x3e9e377a, v4 :: v_dual_sub_f32 v4, v41, v9
	v_fmac_f32_e32 v28, 0x3e9e377a, v3
	v_fmac_f32_e32 v23, 0x3f167918, v7
	v_add_f32_e32 v7, v16, v9
	v_sub_f32_e32 v9, v9, v17
	s_delay_alu instid0(VALU_DEP_3) | instskip(NEXT) | instid1(VALU_DEP_3)
	v_fmac_f32_e32 v23, 0x3e9e377a, v3
	v_add_f32_e32 v3, v7, v17
	v_fma_f32 v7, -0.5, v8, v11
	v_dual_add_f32 v8, v41, v20 :: v_dual_fmac_f32 v25, 0x3e9e377a, v27
	s_delay_alu instid0(VALU_DEP_3) | instskip(SKIP_1) | instid1(VALU_DEP_3)
	v_add_f32_e32 v16, v3, v20
	v_sub_f32_e32 v3, v10, v12
	v_dual_fmac_f32 v11, -0.5, v8 :: v_dual_sub_f32 v8, v20, v17
	v_fmamk_f32 v18, v15, 0xbf737871, v7
	s_delay_alu instid0(VALU_DEP_2) | instskip(SKIP_1) | instid1(VALU_DEP_4)
	v_dual_fmac_f32 v7, 0x3f737871, v15 :: v_dual_add_f32 v4, v4, v8
	v_add_f32_e32 v8, v29, v30
	v_dual_sub_f32 v30, v12, v2 :: v_dual_fmamk_f32 v27, v3, 0x3f737871, v11
	v_fmac_f32_e32 v11, 0xbf737871, v3
	v_fmac_f32_e32 v18, 0xbf167918, v3
	s_delay_alu instid0(VALU_DEP_3) | instskip(NEXT) | instid1(VALU_DEP_3)
	v_fmac_f32_e32 v27, 0xbf167918, v15
	v_fmac_f32_e32 v11, 0x3f167918, v15
	s_delay_alu instid0(VALU_DEP_3) | instskip(NEXT) | instid1(VALU_DEP_3)
	v_fmac_f32_e32 v18, 0x3e9e377a, v4
	v_fmac_f32_e32 v27, 0x3e9e377a, v8
	s_delay_alu instid0(VALU_DEP_3) | instskip(SKIP_4) | instid1(VALU_DEP_2)
	v_fmac_f32_e32 v11, 0x3e9e377a, v8
	v_sub_f32_e32 v15, v41, v20
	v_add_f32_e32 v20, v5, v6
	v_dual_sub_f32 v8, v2, v12 :: v_dual_fmac_f32 v7, 0x3f167918, v3
	v_add_f32_e32 v3, v10, v12
	v_dual_fmac_f32 v7, 0x3e9e377a, v4 :: v_dual_add_f32 v4, v6, v2
	s_delay_alu instid0(VALU_DEP_2) | instskip(NEXT) | instid1(VALU_DEP_2)
	v_fma_f32 v3, -0.5, v3, v5
	v_dual_fmac_f32 v5, -0.5, v4 :: v_dual_sub_f32 v4, v6, v10
	s_delay_alu instid0(VALU_DEP_1) | instskip(NEXT) | instid1(VALU_DEP_1)
	v_dual_sub_f32 v6, v10, v6 :: v_dual_fmamk_f32 v29, v9, 0xbf737871, v5
	v_dual_fmac_f32 v5, 0x3f737871, v9 :: v_dual_add_f32 v6, v6, v30
	s_delay_alu instid0(VALU_DEP_3) | instskip(NEXT) | instid1(VALU_DEP_2)
	v_add_f32_e32 v4, v4, v8
	v_dual_add_f32 v8, v20, v10 :: v_dual_fmac_f32 v5, 0xbf167918, v15
	s_delay_alu instid0(VALU_DEP_1) | instskip(NEXT) | instid1(VALU_DEP_1)
	v_fmac_f32_e32 v5, 0x3e9e377a, v6
	v_mul_f32_e32 v30, 0xbf737871, v5
	s_delay_alu instid0(VALU_DEP_1) | instskip(SKIP_3) | instid1(VALU_DEP_2)
	v_dual_mul_f32 v33, 0xbe9e377a, v5 :: v_dual_fmac_f32 v30, 0xbe9e377a, v11
	v_fmamk_f32 v17, v15, 0x3f737871, v3
	v_fmac_f32_e32 v3, 0xbf737871, v15
	v_fmac_f32_e32 v29, 0x3f167918, v15
	;; [unrolled: 1-line block ×3, first 2 shown]
	s_delay_alu instid0(VALU_DEP_2) | instskip(SKIP_2) | instid1(VALU_DEP_4)
	v_dual_fmac_f32 v29, 0x3e9e377a, v6 :: v_dual_add_f32 v6, v8, v12
	v_add_f32_e32 v8, v25, v30
	v_sub_f32_e32 v12, v13, v16
	v_fmac_f32_e32 v3, 0x3e9e377a, v4
	s_delay_alu instid0(VALU_DEP_4) | instskip(SKIP_1) | instid1(VALU_DEP_3)
	v_mul_f32_e32 v20, 0xbf737871, v29
	v_mul_f32_e32 v29, 0x3e9e377a, v29
	;; [unrolled: 1-line block ×4, first 2 shown]
	v_fmac_f32_e32 v17, 0x3f167918, v9
	s_delay_alu instid0(VALU_DEP_1) | instskip(NEXT) | instid1(VALU_DEP_1)
	v_fmac_f32_e32 v17, 0x3e9e377a, v4
	v_mul_f32_e32 v15, 0xbf167918, v17
	v_mul_f32_e32 v17, 0x3f4f1bbd, v17
	s_delay_alu instid0(VALU_DEP_2) | instskip(NEXT) | instid1(VALU_DEP_2)
	v_fmac_f32_e32 v15, 0x3f4f1bbd, v18
	v_fmac_f32_e32 v17, 0x3f167918, v18
	v_sub_f32_e32 v18, v25, v30
	s_delay_alu instid0(VALU_DEP_3)
	v_add_f32_e32 v4, v14, v15
	v_dual_fmac_f32 v20, 0x3e9e377a, v27 :: v_dual_add_f32 v31, v6, v2
	v_fmac_f32_e32 v32, 0xbf4f1bbd, v7
	v_fmac_f32_e32 v29, 0x3f737871, v27
	v_sub_f32_e32 v14, v14, v15
	v_fmac_f32_e32 v33, 0x3f737871, v11
	v_dual_add_f32 v5, v23, v17 :: v_dual_fmac_f32 v34, 0x3f167918, v7
	v_dual_add_f32 v2, v13, v16 :: v_dual_add_f32 v3, v22, v31
	v_dual_add_f32 v6, v26, v20 :: v_dual_add_f32 v7, v21, v29
	s_delay_alu instid0(VALU_DEP_4) | instskip(NEXT) | instid1(VALU_DEP_4)
	v_dual_add_f32 v9, v24, v33 :: v_dual_add_f32 v10, v19, v32
	v_add_f32_e32 v11, v28, v34
	v_sub_f32_e32 v13, v22, v31
	v_dual_sub_f32 v16, v26, v20 :: v_dual_sub_f32 v15, v23, v17
	v_dual_sub_f32 v17, v21, v29 :: v_dual_sub_f32 v20, v19, v32
	v_sub_f32_e32 v19, v24, v33
	v_sub_f32_e32 v21, v28, v34
	ds_store_2addr_b64 v84, v[2:3], v[4:5] offset1:60
	ds_store_2addr_b64 v84, v[6:7], v[8:9] offset0:120 offset1:180
	ds_store_2addr_b64 v40, v[10:11], v[12:13] offset0:112 offset1:172
	;; [unrolled: 1-line block ×4, first 2 shown]
	s_waitcnt lgkmcnt(0)
	s_barrier
	buffer_gl0_inv
	ds_load_2addr_b64 v[2:5], v84 offset1:60
	ds_load_2addr_b64 v[10:13], v40 offset0:112 offset1:172
	v_mad_u64_u32 v[16:17], null, s6, v56, 0
	v_mad_u64_u32 v[20:21], null, s4, v83, 0
	s_waitcnt lgkmcnt(1)
	v_mul_f32_e32 v6, v76, v3
	s_waitcnt lgkmcnt(0)
	v_mul_f32_e32 v32, v68, v11
	v_mul_f32_e32 v30, v68, v10
	s_delay_alu instid0(VALU_DEP_3) | instskip(SKIP_1) | instid1(VALU_DEP_4)
	v_fmac_f32_e32 v6, v75, v2
	v_mul_f32_e32 v2, v76, v2
	v_fmac_f32_e32 v32, v67, v10
	s_delay_alu instid0(VALU_DEP_4) | instskip(NEXT) | instid1(VALU_DEP_4)
	v_fma_f32 v11, v67, v11, -v30
	v_cvt_f64_f32_e32 v[14:15], v6
	ds_load_2addr_b64 v[6:9], v84 offset0:120 offset1:180
	v_fma_f32 v2, v75, v3, -v2
	v_mul_f32_e32 v3, v70, v5
	v_cvt_f64_f32_e32 v[34:35], v11
	v_mul_f32_e32 v11, v60, v12
	v_cvt_f64_f32_e32 v[32:33], v32
	v_cvt_f64_f32_e32 v[18:19], v2
	v_mul_f32_e32 v2, v70, v4
	v_fmac_f32_e32 v3, v69, v4
	v_fma_f32 v11, v59, v13, -v11
	s_delay_alu instid0(VALU_DEP_3) | instskip(NEXT) | instid1(VALU_DEP_3)
	v_fma_f32 v5, v69, v5, -v2
	v_cvt_f64_f32_e32 v[22:23], v3
	ds_load_2addr_b64 v[1:4], v1 offset0:104 offset1:164
	v_cvt_f64_f32_e32 v[24:25], v5
	s_waitcnt lgkmcnt(1)
	v_mul_f32_e32 v26, v62, v7
	s_delay_alu instid0(VALU_DEP_1) | instskip(NEXT) | instid1(VALU_DEP_1)
	v_dual_mul_f32 v5, v66, v9 :: v_dual_fmac_f32 v26, v61, v6
	v_dual_mul_f32 v6, v62, v6 :: v_dual_fmac_f32 v5, v65, v8
	s_delay_alu instid0(VALU_DEP_2) | instskip(NEXT) | instid1(VALU_DEP_2)
	v_cvt_f64_f32_e32 v[26:27], v26
	v_fma_f32 v6, v61, v7, -v6
	v_mul_f32_e32 v7, v66, v8
	s_waitcnt lgkmcnt(0)
	v_mul_f32_e32 v37, v64, v1
	v_mul_f32_e32 v36, v64, v2
	v_cvt_f64_f32_e32 v[28:29], v6
	v_fma_f32 v31, v65, v9, -v7
	v_cvt_f64_f32_e32 v[9:10], v5
	ds_load_2addr_b64 v[5:8], v0 offset0:96 offset1:156
	v_mul_f64 v[14:15], v[14:15], s[0:1]
	v_fma_f32 v2, v63, v2, -v37
	v_mul_f32_e32 v40, v58, v4
	v_mul_f32_e32 v0, v60, v13
	v_cvt_f64_f32_e32 v[30:31], v31
	v_fmac_f32_e32 v36, v63, v1
	v_cvt_f64_f32_e32 v[38:39], v2
	v_mul_f32_e32 v2, v58, v3
	v_fmac_f32_e32 v40, v57, v3
	v_fmac_f32_e32 v0, v59, v12
	v_cvt_f64_f32_e32 v[11:12], v11
	v_cvt_f64_f32_e32 v[36:37], v36
	v_fma_f32 v2, v57, v4, -v2
	v_cvt_f64_f32_e32 v[40:41], v40
	v_cvt_f64_f32_e32 v[0:1], v0
	v_mul_f64 v[18:19], v[18:19], s[0:1]
	v_mul_f64 v[22:23], v[22:23], s[0:1]
	;; [unrolled: 1-line block ×3, first 2 shown]
	s_waitcnt lgkmcnt(0)
	v_mul_f32_e32 v13, v72, v6
	v_dual_mul_f32 v3, v72, v5 :: v_dual_mul_f32 v42, v74, v8
	v_mul_f32_e32 v43, v74, v7
	s_delay_alu instid0(VALU_DEP_3) | instskip(NEXT) | instid1(VALU_DEP_3)
	v_fmac_f32_e32 v13, v71, v5
	v_fma_f32 v6, v71, v6, -v3
	s_delay_alu instid0(VALU_DEP_4) | instskip(NEXT) | instid1(VALU_DEP_4)
	v_fmac_f32_e32 v42, v73, v7
	v_fma_f32 v8, v73, v8, -v43
	v_cvt_f64_f32_e32 v[2:3], v2
	v_cvt_f64_f32_e32 v[4:5], v13
	;; [unrolled: 1-line block ×5, first 2 shown]
	v_mov_b32_e32 v8, v17
	v_mov_b32_e32 v13, v21
	v_mul_f64 v[26:27], v[26:27], s[0:1]
	v_mul_f64 v[28:29], v[28:29], s[0:1]
	s_delay_alu instid0(VALU_DEP_4) | instskip(NEXT) | instid1(VALU_DEP_4)
	v_mad_u64_u32 v[46:47], null, s7, v56, v[8:9]
	v_mad_u64_u32 v[47:48], null, s5, v83, v[13:14]
	v_mul_f64 v[8:9], v[9:10], s[0:1]
	v_mul_f64 v[30:31], v[30:31], s[0:1]
	v_cvt_f32_f64_e32 v10, v[14:15]
	v_mul_f64 v[38:39], v[38:39], s[0:1]
	v_mov_b32_e32 v17, v46
	v_mov_b32_e32 v21, v47
	v_mul_f64 v[36:37], v[36:37], s[0:1]
	s_delay_alu instid0(VALU_DEP_3) | instskip(SKIP_1) | instid1(VALU_DEP_4)
	v_lshlrev_b64 v[13:14], 3, v[16:17]
	v_mul_f64 v[0:1], v[0:1], s[0:1]
	v_lshlrev_b64 v[15:16], 3, v[20:21]
	v_mul_f64 v[20:21], v[32:33], s[0:1]
	v_mul_f64 v[32:33], v[34:35], s[0:1]
	;; [unrolled: 1-line block ×4, first 2 shown]
	v_cvt_f32_f64_e32 v11, v[18:19]
	v_add_co_u32 v12, vcc_lo, s2, v13
	v_add_co_ci_u32_e32 v13, vcc_lo, s3, v14, vcc_lo
	v_cvt_f32_f64_e32 v14, v[22:23]
	s_delay_alu instid0(VALU_DEP_3)
	v_add_co_u32 v12, vcc_lo, v12, v15
	v_mul_f64 v[2:3], v[2:3], s[0:1]
	v_mul_f64 v[4:5], v[4:5], s[0:1]
	;; [unrolled: 1-line block ×5, first 2 shown]
	v_cvt_f32_f64_e32 v15, v[24:25]
	s_mul_i32 s0, s5, 0x1e0
	s_mul_hi_u32 s1, s4, 0x1e0
	v_add_co_ci_u32_e32 v13, vcc_lo, v13, v16, vcc_lo
	v_cvt_f32_f64_e32 v18, v[26:27]
	v_cvt_f32_f64_e32 v19, v[28:29]
	s_add_i32 s1, s1, s0
	s_mul_i32 s0, s4, 0x1e0
	v_cvt_f32_f64_e32 v8, v[8:9]
	v_cvt_f32_f64_e32 v9, v[30:31]
	v_add_co_u32 v16, vcc_lo, v12, s0
	v_add_co_ci_u32_e32 v17, vcc_lo, s1, v13, vcc_lo
	v_cvt_f32_f64_e32 v25, v[38:39]
	s_delay_alu instid0(VALU_DEP_3)
	v_add_co_u32 v22, vcc_lo, v16, s0
	v_cvt_f32_f64_e32 v24, v[36:37]
	v_cvt_f32_f64_e32 v0, v[0:1]
	v_add_co_ci_u32_e32 v23, vcc_lo, s1, v17, vcc_lo
	v_cvt_f32_f64_e32 v20, v[20:21]
	v_cvt_f32_f64_e32 v21, v[32:33]
	;; [unrolled: 1-line block ×4, first 2 shown]
	global_store_b64 v[12:13], v[10:11], off
	v_cvt_f32_f64_e32 v27, v[2:3]
	v_cvt_f32_f64_e32 v2, v[4:5]
	;; [unrolled: 1-line block ×5, first 2 shown]
	v_add_co_u32 v6, vcc_lo, v22, s0
	v_add_co_ci_u32_e32 v7, vcc_lo, s1, v23, vcc_lo
	global_store_b64 v[16:17], v[14:15], off
	v_add_co_u32 v28, vcc_lo, v6, s0
	v_add_co_ci_u32_e32 v29, vcc_lo, s1, v7, vcc_lo
	global_store_b64 v[22:23], v[18:19], off
	;; [unrolled: 3-line block ×3, first 2 shown]
	v_add_co_u32 v12, vcc_lo, v10, s0
	v_add_co_ci_u32_e32 v13, vcc_lo, s1, v11, vcc_lo
	s_delay_alu instid0(VALU_DEP_2) | instskip(NEXT) | instid1(VALU_DEP_2)
	v_add_co_u32 v14, vcc_lo, v12, s0
	v_add_co_ci_u32_e32 v15, vcc_lo, s1, v13, vcc_lo
	global_store_b64 v[28:29], v[20:21], off
	v_add_co_u32 v6, vcc_lo, v14, s0
	v_add_co_ci_u32_e32 v7, vcc_lo, s1, v15, vcc_lo
	s_delay_alu instid0(VALU_DEP_2) | instskip(NEXT) | instid1(VALU_DEP_2)
	v_add_co_u32 v8, vcc_lo, v6, s0
	v_add_co_ci_u32_e32 v9, vcc_lo, s1, v7, vcc_lo
	global_store_b64 v[10:11], v[0:1], off
	global_store_b64 v[12:13], v[24:25], off
	;; [unrolled: 1-line block ×5, first 2 shown]
.LBB0_10:
	s_nop 0
	s_sendmsg sendmsg(MSG_DEALLOC_VGPRS)
	s_endpgm
	.section	.rodata,"a",@progbits
	.p2align	6, 0x0
	.amdhsa_kernel bluestein_single_back_len600_dim1_sp_op_CI_CI
		.amdhsa_group_segment_fixed_size 4800
		.amdhsa_private_segment_fixed_size 0
		.amdhsa_kernarg_size 104
		.amdhsa_user_sgpr_count 15
		.amdhsa_user_sgpr_dispatch_ptr 0
		.amdhsa_user_sgpr_queue_ptr 0
		.amdhsa_user_sgpr_kernarg_segment_ptr 1
		.amdhsa_user_sgpr_dispatch_id 0
		.amdhsa_user_sgpr_private_segment_size 0
		.amdhsa_wavefront_size32 1
		.amdhsa_uses_dynamic_stack 0
		.amdhsa_enable_private_segment 0
		.amdhsa_system_sgpr_workgroup_id_x 1
		.amdhsa_system_sgpr_workgroup_id_y 0
		.amdhsa_system_sgpr_workgroup_id_z 0
		.amdhsa_system_sgpr_workgroup_info 0
		.amdhsa_system_vgpr_workitem_id 0
		.amdhsa_next_free_vgpr 131
		.amdhsa_next_free_sgpr 20
		.amdhsa_reserve_vcc 1
		.amdhsa_float_round_mode_32 0
		.amdhsa_float_round_mode_16_64 0
		.amdhsa_float_denorm_mode_32 3
		.amdhsa_float_denorm_mode_16_64 3
		.amdhsa_dx10_clamp 1
		.amdhsa_ieee_mode 1
		.amdhsa_fp16_overflow 0
		.amdhsa_workgroup_processor_mode 1
		.amdhsa_memory_ordered 1
		.amdhsa_forward_progress 0
		.amdhsa_shared_vgpr_count 0
		.amdhsa_exception_fp_ieee_invalid_op 0
		.amdhsa_exception_fp_denorm_src 0
		.amdhsa_exception_fp_ieee_div_zero 0
		.amdhsa_exception_fp_ieee_overflow 0
		.amdhsa_exception_fp_ieee_underflow 0
		.amdhsa_exception_fp_ieee_inexact 0
		.amdhsa_exception_int_div_zero 0
	.end_amdhsa_kernel
	.text
.Lfunc_end0:
	.size	bluestein_single_back_len600_dim1_sp_op_CI_CI, .Lfunc_end0-bluestein_single_back_len600_dim1_sp_op_CI_CI
                                        ; -- End function
	.section	.AMDGPU.csdata,"",@progbits
; Kernel info:
; codeLenInByte = 9136
; NumSgprs: 22
; NumVgprs: 131
; ScratchSize: 0
; MemoryBound: 0
; FloatMode: 240
; IeeeMode: 1
; LDSByteSize: 4800 bytes/workgroup (compile time only)
; SGPRBlocks: 2
; VGPRBlocks: 16
; NumSGPRsForWavesPerEU: 22
; NumVGPRsForWavesPerEU: 131
; Occupancy: 10
; WaveLimiterHint : 1
; COMPUTE_PGM_RSRC2:SCRATCH_EN: 0
; COMPUTE_PGM_RSRC2:USER_SGPR: 15
; COMPUTE_PGM_RSRC2:TRAP_HANDLER: 0
; COMPUTE_PGM_RSRC2:TGID_X_EN: 1
; COMPUTE_PGM_RSRC2:TGID_Y_EN: 0
; COMPUTE_PGM_RSRC2:TGID_Z_EN: 0
; COMPUTE_PGM_RSRC2:TIDIG_COMP_CNT: 0
	.text
	.p2alignl 7, 3214868480
	.fill 96, 4, 3214868480
	.type	__hip_cuid_a84003ff5f452d34,@object ; @__hip_cuid_a84003ff5f452d34
	.section	.bss,"aw",@nobits
	.globl	__hip_cuid_a84003ff5f452d34
__hip_cuid_a84003ff5f452d34:
	.byte	0                               ; 0x0
	.size	__hip_cuid_a84003ff5f452d34, 1

	.ident	"AMD clang version 19.0.0git (https://github.com/RadeonOpenCompute/llvm-project roc-6.4.0 25133 c7fe45cf4b819c5991fe208aaa96edf142730f1d)"
	.section	".note.GNU-stack","",@progbits
	.addrsig
	.addrsig_sym __hip_cuid_a84003ff5f452d34
	.amdgpu_metadata
---
amdhsa.kernels:
  - .args:
      - .actual_access:  read_only
        .address_space:  global
        .offset:         0
        .size:           8
        .value_kind:     global_buffer
      - .actual_access:  read_only
        .address_space:  global
        .offset:         8
        .size:           8
        .value_kind:     global_buffer
      - .actual_access:  read_only
        .address_space:  global
        .offset:         16
        .size:           8
        .value_kind:     global_buffer
      - .actual_access:  read_only
        .address_space:  global
        .offset:         24
        .size:           8
        .value_kind:     global_buffer
      - .actual_access:  read_only
        .address_space:  global
        .offset:         32
        .size:           8
        .value_kind:     global_buffer
      - .offset:         40
        .size:           8
        .value_kind:     by_value
      - .address_space:  global
        .offset:         48
        .size:           8
        .value_kind:     global_buffer
      - .address_space:  global
        .offset:         56
        .size:           8
        .value_kind:     global_buffer
      - .address_space:  global
        .offset:         64
        .size:           8
        .value_kind:     global_buffer
      - .address_space:  global
        .offset:         72
        .size:           8
        .value_kind:     global_buffer
      - .offset:         80
        .size:           4
        .value_kind:     by_value
      - .address_space:  global
        .offset:         88
        .size:           8
        .value_kind:     global_buffer
      - .address_space:  global
        .offset:         96
        .size:           8
        .value_kind:     global_buffer
    .group_segment_fixed_size: 4800
    .kernarg_segment_align: 8
    .kernarg_segment_size: 104
    .language:       OpenCL C
    .language_version:
      - 2
      - 0
    .max_flat_workgroup_size: 60
    .name:           bluestein_single_back_len600_dim1_sp_op_CI_CI
    .private_segment_fixed_size: 0
    .sgpr_count:     22
    .sgpr_spill_count: 0
    .symbol:         bluestein_single_back_len600_dim1_sp_op_CI_CI.kd
    .uniform_work_group_size: 1
    .uses_dynamic_stack: false
    .vgpr_count:     131
    .vgpr_spill_count: 0
    .wavefront_size: 32
    .workgroup_processor_mode: 1
amdhsa.target:   amdgcn-amd-amdhsa--gfx1100
amdhsa.version:
  - 1
  - 2
...

	.end_amdgpu_metadata
